;; amdgpu-corpus repo=ROCm/rocFFT kind=compiled arch=gfx1030 opt=O3
	.text
	.amdgcn_target "amdgcn-amd-amdhsa--gfx1030"
	.amdhsa_code_object_version 6
	.protected	bluestein_single_fwd_len1350_dim1_half_op_CI_CI ; -- Begin function bluestein_single_fwd_len1350_dim1_half_op_CI_CI
	.globl	bluestein_single_fwd_len1350_dim1_half_op_CI_CI
	.p2align	8
	.type	bluestein_single_fwd_len1350_dim1_half_op_CI_CI,@function
bluestein_single_fwd_len1350_dim1_half_op_CI_CI: ; @bluestein_single_fwd_len1350_dim1_half_op_CI_CI
; %bb.0:
	s_load_dwordx4 s[8:11], s[4:5], 0x28
	v_mul_u32_u24_e32 v1, 0x1e6, v0
	v_mov_b32_e32 v9, 0
	s_mov_b32 s0, exec_lo
	v_lshrrev_b32_e32 v1, 16, v1
	v_add_nc_u32_e32 v8, s6, v1
	s_waitcnt lgkmcnt(0)
	v_cmpx_gt_u64_e64 s[8:9], v[8:9]
	s_cbranch_execz .LBB0_26
; %bb.1:
	s_clause 0x1
	s_load_dwordx4 s[0:3], s[4:5], 0x18
	s_load_dwordx4 s[12:15], s[4:5], 0x0
	v_mul_lo_u16 v1, 0x87, v1
	v_mov_b32_e32 v27, 2
	v_sub_nc_u16 v11, v0, v1
	v_and_b32_e32 v51, 0xffff, v11
	v_lshlrev_b32_e32 v49, 2, v51
	s_waitcnt lgkmcnt(0)
	s_load_dwordx4 s[16:19], s[0:1], 0x0
	s_clause 0x2
	global_load_dword v52, v49, s[12:13]
	global_load_dword v53, v49, s[12:13] offset:1080
	global_load_dword v46, v49, s[12:13] offset:1620
	v_add_co_u32 v9, s0, s12, v49
	v_add_co_ci_u32_e64 v10, null, s13, 0, s0
	v_add_nc_u32_e32 v13, 0x400, v49
	v_add_nc_u32_e32 v12, 0x800, v49
	;; [unrolled: 1-line block ×4, first 2 shown]
	s_waitcnt lgkmcnt(0)
	v_mad_u64_u32 v[0:1], null, s18, v8, 0
	v_mad_u64_u32 v[2:3], null, s16, v51, 0
	s_mul_i32 s0, s17, 0x438
	s_mul_hi_u32 s1, s16, 0x438
	s_mul_i32 s6, s16, 0x438
	s_add_i32 s1, s1, s0
	s_mul_i32 s0, s17, 0xfffff13c
	v_mad_u64_u32 v[4:5], null, s19, v8, v[1:2]
	s_sub_i32 s0, s0, s16
	v_mad_u64_u32 v[5:6], null, s17, v51, v[3:4]
	v_mov_b32_e32 v1, v4
	v_add_co_u32 v4, vcc_lo, 0x800, v9
	v_lshlrev_b64 v[0:1], 2, v[0:1]
	v_mov_b32_e32 v3, v5
	v_add_co_ci_u32_e32 v5, vcc_lo, 0, v10, vcc_lo
	v_lshlrev_b64 v[2:3], 2, v[2:3]
	v_add_co_u32 v0, vcc_lo, s10, v0
	v_add_co_ci_u32_e32 v1, vcc_lo, s11, v1, vcc_lo
	global_load_dword v54, v[4:5], off offset:112
	v_add_co_u32 v0, vcc_lo, v0, v2
	v_add_co_ci_u32_e32 v1, vcc_lo, v1, v3, vcc_lo
	v_add_co_u32 v2, vcc_lo, v0, s6
	v_add_co_ci_u32_e32 v3, vcc_lo, s1, v1, vcc_lo
	s_clause 0x1
	global_load_dword v14, v[0:1], off
	global_load_dword v15, v[2:3], off
	v_add_co_u32 v0, vcc_lo, v2, s6
	v_add_co_ci_u32_e32 v1, vcc_lo, s1, v3, vcc_lo
	v_add_co_u32 v2, vcc_lo, v0, s6
	v_add_co_ci_u32_e32 v3, vcc_lo, s1, v1, vcc_lo
	global_load_dword v16, v[0:1], off
	global_load_dword v50, v[4:5], off offset:1192
	global_load_dword v17, v[2:3], off
	v_add_co_u32 v6, vcc_lo, v2, s6
	v_add_co_ci_u32_e32 v7, vcc_lo, s1, v3, vcc_lo
	v_add_co_u32 v2, vcc_lo, 0x1000, v9
	v_add_co_ci_u32_e32 v3, vcc_lo, 0, v10, vcc_lo
	v_mad_u64_u32 v[0:1], null, 0xfffff13c, s16, v[6:7]
	global_load_dword v9, v[6:7], off
	s_clause 0x2
	global_load_dword v47, v49, s[12:13] offset:540
	global_load_dword v48, v[2:3], off offset:224
	global_load_dword v44, v[4:5], off offset:1732
	v_add_nc_u32_e32 v1, s0, v1
	v_add_co_u32 v6, vcc_lo, v0, s6
	v_add_co_u32 v66, s0, 0x87, v51
	v_add_co_ci_u32_e32 v7, vcc_lo, s1, v1, vcc_lo
	global_load_dword v10, v[0:1], off
	v_add_co_u32 v0, vcc_lo, v6, s6
	v_add_co_ci_u32_e32 v1, vcc_lo, s1, v7, vcc_lo
	global_load_dword v18, v[6:7], off
	v_add_co_u32 v6, vcc_lo, v0, s6
	;; [unrolled: 3-line block ×3, first 2 shown]
	v_add_co_ci_u32_e32 v1, vcc_lo, s1, v7, vcc_lo
	global_load_dword v45, v[4:5], off offset:652
	global_load_dword v4, v[6:7], off
	global_load_dword v0, v[0:1], off
	global_load_dword v43, v[2:3], off offset:764
	v_and_b32_e32 v1, 0xff, v11
	s_load_dwordx4 s[8:11], s[2:3], 0x0
	s_load_dwordx2 s[2:3], s[4:5], 0x38
	v_add_co_ci_u32_e64 v35, null, 0, 0, s0
	v_mul_lo_u16 v1, 0xcd, v1
	v_cmp_gt_u16_e32 vcc_lo, 45, v11
	v_lshrrev_b16 v23, 10, v1
	v_mul_lo_u16 v22, v23, 5
	s_waitcnt vmcnt(15)
	v_lshrrev_b32_e32 v2, 16, v14
	v_mul_f16_sdwa v1, v52, v14 dst_sel:DWORD dst_unused:UNUSED_PAD src0_sel:WORD_1 src1_sel:DWORD
	s_waitcnt vmcnt(14)
	v_lshrrev_b32_e32 v5, 16, v15
	v_mul_f16_sdwa v6, v53, v15 dst_sel:DWORD dst_unused:UNUSED_PAD src0_sel:WORD_1 src1_sel:DWORD
	v_mul_f16_sdwa v3, v52, v2 dst_sel:DWORD dst_unused:UNUSED_PAD src0_sel:WORD_1 src1_sel:DWORD
	v_fma_f16 v1, v52, v2, -v1
	v_mul_f16_sdwa v2, v53, v5 dst_sel:DWORD dst_unused:UNUSED_PAD src0_sel:WORD_1 src1_sel:DWORD
	v_fma_f16 v5, v53, v5, -v6
	v_fmac_f16_e32 v3, v52, v14
	s_waitcnt vmcnt(13)
	v_lshrrev_b32_e32 v6, 16, v16
	v_mul_f16_sdwa v7, v54, v16 dst_sel:DWORD dst_unused:UNUSED_PAD src0_sel:WORD_1 src1_sel:DWORD
	v_fmac_f16_e32 v2, v53, v15
	v_pack_b32_f16 v1, v3, v1
	s_waitcnt vmcnt(11)
	v_lshrrev_b32_e32 v3, 16, v17
	v_mul_f16_sdwa v14, v54, v6 dst_sel:DWORD dst_unused:UNUSED_PAD src0_sel:WORD_1 src1_sel:DWORD
	v_fma_f16 v6, v54, v6, -v7
	v_mul_f16_sdwa v7, v50, v17 dst_sel:DWORD dst_unused:UNUSED_PAD src0_sel:WORD_1 src1_sel:DWORD
	v_pack_b32_f16 v2, v2, v5
	v_mul_f16_sdwa v5, v50, v3 dst_sel:DWORD dst_unused:UNUSED_PAD src0_sel:WORD_1 src1_sel:DWORD
	v_fmac_f16_e32 v14, v54, v16
	s_waitcnt vmcnt(10)
	v_lshrrev_b32_e32 v15, 16, v9
	v_fma_f16 v3, v50, v3, -v7
	s_waitcnt vmcnt(8)
	v_mul_f16_sdwa v7, v48, v9 dst_sel:DWORD dst_unused:UNUSED_PAD src0_sel:WORD_1 src1_sel:DWORD
	v_fmac_f16_e32 v5, v50, v17
	v_pack_b32_f16 v6, v14, v6
	v_mul_f16_sdwa v16, v48, v15 dst_sel:DWORD dst_unused:UNUSED_PAD src0_sel:WORD_1 src1_sel:DWORD
	ds_write_b32 v49, v2 offset:1080
	v_fma_f16 v2, v48, v15, -v7
	v_pack_b32_f16 v3, v5, v3
	ds_write_b32 v49, v6 offset:2160
	v_fmac_f16_e32 v16, v48, v9
	ds_write_b32 v49, v3 offset:3240
	s_waitcnt vmcnt(6)
	v_lshrrev_b32_e32 v5, 16, v10
	v_mul_f16_sdwa v6, v47, v10 dst_sel:DWORD dst_unused:UNUSED_PAD src0_sel:WORD_1 src1_sel:DWORD
	v_pack_b32_f16 v2, v16, v2
	s_waitcnt vmcnt(5)
	v_lshrrev_b32_e32 v3, 16, v18
	v_mul_f16_sdwa v7, v47, v5 dst_sel:DWORD dst_unused:UNUSED_PAD src0_sel:WORD_1 src1_sel:DWORD
	v_fma_f16 v5, v47, v5, -v6
	v_mul_f16_sdwa v6, v46, v18 dst_sel:DWORD dst_unused:UNUSED_PAD src0_sel:WORD_1 src1_sel:DWORD
	ds_write_b32 v49, v2 offset:4320
	s_waitcnt vmcnt(4)
	v_lshrrev_b32_e32 v9, 16, v19
	v_mul_f16_sdwa v2, v46, v3 dst_sel:DWORD dst_unused:UNUSED_PAD src0_sel:WORD_1 src1_sel:DWORD
	v_fmac_f16_e32 v7, v47, v10
	v_fma_f16 v3, v46, v3, -v6
	s_waitcnt vmcnt(3)
	v_mul_f16_sdwa v6, v45, v19 dst_sel:DWORD dst_unused:UNUSED_PAD src0_sel:WORD_1 src1_sel:DWORD
	s_waitcnt vmcnt(2)
	v_lshrrev_b32_e32 v10, 16, v4
	s_waitcnt vmcnt(1)
	v_lshrrev_b32_e32 v15, 16, v0
	v_mul_f16_sdwa v14, v45, v9 dst_sel:DWORD dst_unused:UNUSED_PAD src0_sel:WORD_1 src1_sel:DWORD
	v_fmac_f16_e32 v2, v46, v18
	v_fma_f16 v6, v45, v9, -v6
	v_mul_f16_sdwa v9, v44, v4 dst_sel:DWORD dst_unused:UNUSED_PAD src0_sel:WORD_1 src1_sel:DWORD
	v_mul_f16_sdwa v16, v44, v10 dst_sel:DWORD dst_unused:UNUSED_PAD src0_sel:WORD_1 src1_sel:DWORD
	s_waitcnt vmcnt(0)
	v_mul_f16_sdwa v17, v43, v0 dst_sel:DWORD dst_unused:UNUSED_PAD src0_sel:WORD_1 src1_sel:DWORD
	v_mul_f16_sdwa v18, v43, v15 dst_sel:DWORD dst_unused:UNUSED_PAD src0_sel:WORD_1 src1_sel:DWORD
	v_fmac_f16_e32 v14, v45, v19
	v_fma_f16 v9, v44, v10, -v9
	v_fmac_f16_e32 v16, v44, v4
	v_fma_f16 v4, v43, v15, -v17
	v_fmac_f16_e32 v18, v43, v0
	v_pack_b32_f16 v0, v7, v5
	v_pack_b32_f16 v2, v2, v3
	;; [unrolled: 1-line block ×5, first 2 shown]
	ds_write2_b32 v49, v1, v0 offset1:135
	ds_write_b32 v49, v2 offset:1620
	ds_write_b32 v49, v3 offset:2700
	;; [unrolled: 1-line block ×4, first 2 shown]
	s_waitcnt lgkmcnt(0)
	s_barrier
	buffer_gl0_inv
	ds_read2_b32 v[0:1], v49 offset1:135
	ds_read2_b32 v[2:3], v13 offset0:14 offset1:149
	ds_read2_b32 v[4:5], v12 offset0:28 offset1:163
	;; [unrolled: 1-line block ×4, first 2 shown]
	v_sub_nc_u16 v14, v11, v22
	v_mul_lo_u16 v15, v11, 5
	v_mul_u32_u24_e32 v16, 5, v66
	s_waitcnt lgkmcnt(0)
	s_barrier
	v_and_b32_e32 v14, 0xff, v14
	v_lshlrev_b32_sdwa v57, v27, v15 dst_sel:DWORD dst_unused:UNUSED_PAD src0_sel:DWORD src1_sel:WORD_0
	v_lshlrev_b32_e32 v56, 2, v16
	buffer_gl0_inv
	v_mad_u64_u32 v[15:16], null, v14, 36, s[14:15]
	v_pk_add_f16 v17, v1, v3
	v_pk_add_f16 v18, v0, v2
	v_pk_add_f16 v19, v4, v6
	v_pk_add_f16 v22, v2, v9 neg_lo:[0,1] neg_hi:[0,1]
	v_pk_add_f16 v24, v4, v6 neg_lo:[0,1] neg_hi:[0,1]
	v_pk_add_f16 v28, v2, v9
	v_pk_add_f16 v25, v2, v4 neg_lo:[0,1] neg_hi:[0,1]
	v_pk_add_f16 v26, v9, v6 neg_lo:[0,1] neg_hi:[0,1]
	v_pk_add_f16 v30, v5, v7
	v_pk_add_f16 v31, v3, v10 neg_lo:[0,1] neg_hi:[0,1]
	v_pk_add_f16 v2, v4, v2 neg_lo:[0,1] neg_hi:[0,1]
	v_pk_add_f16 v29, v6, v9 neg_lo:[0,1] neg_hi:[0,1]
	v_pk_add_f16 v32, v5, v7 neg_lo:[0,1] neg_hi:[0,1]
	v_pk_add_f16 v36, v3, v10
	v_pk_add_f16 v33, v3, v5 neg_lo:[0,1] neg_hi:[0,1]
	v_pk_add_f16 v3, v5, v3 neg_lo:[0,1] neg_hi:[0,1]
	v_pk_add_f16 v5, v17, v5
	v_pk_add_f16 v4, v18, v4
	v_pk_fma_f16 v17, v19, 0.5, v0 op_sel_hi:[1,0,1] neg_lo:[1,0,0] neg_hi:[1,0,0]
	v_pk_mul_f16 v18, 0x3b9c, v22 op_sel_hi:[0,1]
	v_pk_mul_f16 v19, 0x38b4, v24 op_sel_hi:[0,1]
	v_pk_fma_f16 v0, v28, 0.5, v0 op_sel_hi:[1,0,1] neg_lo:[1,0,0] neg_hi:[1,0,0]
	v_pk_mul_f16 v24, 0x3b9c, v24 op_sel_hi:[0,1]
	v_pk_add_f16 v25, v25, v26
	v_pk_fma_f16 v26, v30, 0.5, v1 op_sel_hi:[1,0,1] neg_lo:[1,0,0] neg_hi:[1,0,0]
	v_pk_mul_f16 v28, 0x3b9c, v31 op_sel_hi:[0,1]
	v_pk_add_f16 v2, v2, v29
	v_pk_mul_f16 v29, 0x38b4, v32 op_sel_hi:[0,1]
	v_pk_fma_f16 v1, v36, 0.5, v1 op_sel_hi:[1,0,1] neg_lo:[1,0,0] neg_hi:[1,0,0]
	v_pk_mul_f16 v32, 0x3b9c, v32 op_sel_hi:[0,1]
	v_pk_add_f16 v34, v10, v7 neg_lo:[0,1] neg_hi:[0,1]
	v_pk_add_f16 v37, v7, v10 neg_lo:[0,1] neg_hi:[0,1]
	v_pk_add_f16 v5, v5, v7
	v_pk_add_f16 v4, v4, v6
	v_pk_add_f16 v6, v17, v18 op_sel:[0,1] op_sel_hi:[1,0]
	v_pk_add_f16 v7, v17, v18 op_sel:[0,1] op_sel_hi:[1,0] neg_lo:[0,1] neg_hi:[0,1]
	v_pk_mul_f16 v22, 0x38b4, v22 op_sel_hi:[0,1]
	v_pk_add_f16 v17, v0, v24 op_sel:[0,1] op_sel_hi:[1,0] neg_lo:[0,1] neg_hi:[0,1]
	v_pk_add_f16 v0, v0, v24 op_sel:[0,1] op_sel_hi:[1,0]
	v_pk_add_f16 v18, v26, v28 op_sel:[0,1] op_sel_hi:[1,0]
	v_pk_add_f16 v24, v26, v28 op_sel:[0,1] op_sel_hi:[1,0] neg_lo:[0,1] neg_hi:[0,1]
	v_pk_mul_f16 v31, 0x38b4, v31 op_sel_hi:[0,1]
	v_pk_add_f16 v26, v1, v32 op_sel:[0,1] op_sel_hi:[1,0] neg_lo:[0,1] neg_hi:[0,1]
	v_pk_add_f16 v1, v1, v32 op_sel:[0,1] op_sel_hi:[1,0]
	v_pk_add_f16 v6, v6, v19 op_sel:[0,1] op_sel_hi:[1,0]
	v_pk_add_f16 v7, v7, v19 op_sel:[0,1] op_sel_hi:[1,0] neg_lo:[0,1] neg_hi:[0,1]
	v_pk_add_f16 v4, v4, v9
	v_pk_add_f16 v9, v17, v22 op_sel:[0,1] op_sel_hi:[1,0]
	v_pk_add_f16 v0, v0, v22 op_sel:[0,1] op_sel_hi:[1,0] neg_lo:[0,1] neg_hi:[0,1]
	v_pk_add_f16 v5, v5, v10
	v_pk_add_f16 v10, v18, v29 op_sel:[0,1] op_sel_hi:[1,0]
	v_pk_add_f16 v17, v24, v29 op_sel:[0,1] op_sel_hi:[1,0] neg_lo:[0,1] neg_hi:[0,1]
	v_pk_add_f16 v18, v26, v31 op_sel:[0,1] op_sel_hi:[1,0]
	v_pk_add_f16 v1, v1, v31 op_sel:[0,1] op_sel_hi:[1,0] neg_lo:[0,1] neg_hi:[0,1]
	v_bfi_b32 v19, 0xffff, v6, v7
	v_bfi_b32 v22, 0xffff, v9, v0
	;; [unrolled: 1-line block ×4, first 2 shown]
	v_pk_add_f16 v30, v33, v34
	v_bfi_b32 v7, 0xffff, v10, v17
	v_pk_add_f16 v3, v3, v37
	v_bfi_b32 v9, 0xffff, v18, v1
	v_bfi_b32 v1, 0xffff, v1, v18
	;; [unrolled: 1-line block ×3, first 2 shown]
	v_pk_fma_f16 v17, 0x34f2, v25, v19 op_sel_hi:[0,1,1]
	v_pk_fma_f16 v18, 0x34f2, v2, v22 op_sel_hi:[0,1,1]
	v_pk_fma_f16 v0, 0x34f2, v2, v0 op_sel_hi:[0,1,1]
	v_pk_fma_f16 v2, 0x34f2, v25, v6 op_sel_hi:[0,1,1]
	v_pk_fma_f16 v6, 0x34f2, v30, v7 op_sel_hi:[0,1,1]
	v_pk_fma_f16 v7, 0x34f2, v3, v9 op_sel_hi:[0,1,1]
	v_pk_fma_f16 v1, 0x34f2, v3, v1 op_sel_hi:[0,1,1]
	v_pk_fma_f16 v3, 0x34f2, v30, v10 op_sel_hi:[0,1,1]
	ds_write2_b32 v57, v4, v17 offset1:1
	ds_write2_b32 v57, v18, v0 offset0:2 offset1:3
	ds_write_b32 v57, v2 offset:16
	ds_write2_b32 v56, v5, v6 offset1:1
	ds_write2_b32 v56, v7, v1 offset0:2 offset1:3
	ds_write_b32 v56, v3 offset:16
	s_waitcnt lgkmcnt(0)
	s_barrier
	buffer_gl0_inv
	s_clause 0x2
	global_load_dwordx4 v[0:3], v[15:16], off
	global_load_dwordx4 v[4:7], v[15:16], off offset:16
	global_load_dword v55, v[15:16], off offset:32
	ds_read2_b32 v[9:10], v49 offset1:135
	ds_read2_b32 v[15:16], v13 offset0:14 offset1:149
	ds_read2_b32 v[17:18], v12 offset0:28 offset1:163
	;; [unrolled: 1-line block ×4, first 2 shown]
	v_mov_b32_e32 v24, 50
	s_waitcnt vmcnt(0) lgkmcnt(0)
	s_barrier
	buffer_gl0_inv
	v_mul_u32_u24_sdwa v23, v23, v24 dst_sel:DWORD dst_unused:UNUSED_PAD src0_sel:WORD_0 src1_sel:DWORD
	v_add_nc_u32_e32 v24, 0xe00, v49
	v_add_lshl_u32 v58, v23, v14, 2
	v_lshrrev_b32_e32 v33, 16, v10
	v_lshrrev_b32_e32 v23, 16, v15
	;; [unrolled: 1-line block ×10, first 2 shown]
	v_mul_f16_sdwa v34, v23, v1 dst_sel:DWORD dst_unused:UNUSED_PAD src0_sel:DWORD src1_sel:WORD_1
	v_mul_f16_sdwa v36, v15, v1 dst_sel:DWORD dst_unused:UNUSED_PAD src0_sel:DWORD src1_sel:WORD_1
	;; [unrolled: 1-line block ×18, first 2 shown]
	v_fma_f16 v15, v15, v1, -v34
	v_fma_f16 v16, v16, v2, -v37
	;; [unrolled: 1-line block ×4, first 2 shown]
	v_fmac_f16_e32 v36, v23, v1
	v_fmac_f16_e32 v38, v25, v2
	v_fmac_f16_e32 v40, v26, v3
	v_fmac_f16_e32 v42, v28, v4
	v_fma_f16 v19, v19, v5, -v59
	v_fmac_f16_e32 v60, v29, v5
	v_fma_f16 v20, v20, v6, -v61
	v_fmac_f16_e32 v62, v30, v6
	;; [unrolled: 2-line block ×3, first 2 shown]
	v_fmac_f16_e32 v68, v33, v0
	v_fma_f16 v10, v10, v0, -v69
	v_fma_f16 v22, v22, v55, -v65
	v_fmac_f16_e32 v67, v32, v55
	v_add_f16_e32 v23, v9, v15
	v_add_f16_e32 v25, v17, v19
	v_sub_f16_e32 v26, v15, v17
	v_sub_f16_e32 v28, v21, v19
	v_add_f16_e32 v29, v15, v21
	v_sub_f16_e32 v30, v17, v15
	v_sub_f16_e32 v31, v19, v21
	;; [unrolled: 1-line block ×4, first 2 shown]
	v_add_f16_e32 v39, v14, v36
	v_sub_f16_e32 v41, v40, v36
	v_sub_f16_e32 v59, v60, v64
	v_add_f16_e32 v65, v18, v20
	v_add_f16_e32 v70, v10, v16
	;; [unrolled: 1-line block ×8, first 2 shown]
	v_sub_f16_e32 v61, v16, v18
	v_sub_f16_e32 v71, v18, v16
	;; [unrolled: 1-line block ×8, first 2 shown]
	v_add_f16_e32 v26, v26, v28
	v_fma_f16 v25, -0.5, v25, v9
	v_fmac_f16_e32 v9, -0.5, v29
	v_add_f16_e32 v28, v30, v31
	v_add_f16_e32 v29, v33, v34
	;; [unrolled: 1-line block ×3, first 2 shown]
	v_fma_f16 v33, -0.5, v65, v10
	v_fma_f16 v41, -0.5, v75, v68
	v_add_f16_e32 v17, v23, v17
	v_add_f16_e32 v23, v39, v40
	;; [unrolled: 1-line block ×4, first 2 shown]
	v_sub_f16_e32 v63, v22, v20
	v_sub_f16_e32 v83, v42, v62
	v_fma_f16 v30, -0.5, v32, v14
	v_fmac_f16_e32 v14, -0.5, v37
	v_fmac_f16_e32 v10, -0.5, v69
	;; [unrolled: 1-line block ×3, first 2 shown]
	v_sub_f16_e32 v72, v20, v22
	v_sub_f16_e32 v74, v67, v62
	;; [unrolled: 1-line block ×5, first 2 shown]
	v_add_f16_e32 v17, v17, v19
	v_add_f16_e32 v19, v23, v60
	;; [unrolled: 1-line block ×4, first 2 shown]
	v_fmamk_f16 v60, v38, 0x3b9c, v33
	v_fmamk_f16 v62, v16, 0xbb9c, v41
	v_sub_f16_e32 v15, v15, v21
	v_add_f16_e32 v32, v61, v63
	v_fmamk_f16 v59, v80, 0x3b9c, v14
	v_fmac_f16_e32 v14, 0xbb9c, v80
	v_fmamk_f16 v61, v83, 0xbb9c, v10
	v_fmac_f16_e32 v10, 0x3b9c, v83
	;; [unrolled: 2-line block ×3, first 2 shown]
	v_fmac_f16_e32 v33, 0xbb9c, v38
	v_fmac_f16_e32 v41, 0x3b9c, v16
	v_add_f16_e32 v37, v73, v74
	v_fmamk_f16 v23, v36, 0x3b9c, v25
	v_fmac_f16_e32 v25, 0xbb9c, v36
	v_fmac_f16_e32 v60, 0x38b4, v83
	;; [unrolled: 1-line block ×3, first 2 shown]
	v_add_f16_e32 v34, v71, v72
	v_add_f16_e32 v40, v78, v79
	v_fmamk_f16 v39, v81, 0xbb9c, v9
	v_fmac_f16_e32 v9, 0x3b9c, v81
	v_fmamk_f16 v42, v15, 0xbb9c, v30
	v_fmac_f16_e32 v30, 0x3b9c, v15
	v_add_f16_e32 v17, v17, v21
	v_add_f16_e32 v19, v19, v64
	v_fmac_f16_e32 v59, 0xb8b4, v15
	v_fmac_f16_e32 v14, 0x38b4, v15
	v_add_f16_e32 v15, v18, v22
	v_fmac_f16_e32 v61, 0x38b4, v38
	v_fmac_f16_e32 v10, 0xb8b4, v38
	;; [unrolled: 3-line block ×3, first 2 shown]
	v_fmac_f16_e32 v33, 0xb8b4, v83
	v_fmac_f16_e32 v41, 0x38b4, v82
	;; [unrolled: 1-line block ×12, first 2 shown]
	v_add_f16_e32 v16, v17, v15
	v_add_f16_e32 v20, v19, v18
	v_fmac_f16_e32 v33, 0x34f2, v32
	v_fmac_f16_e32 v41, 0x34f2, v37
	v_sub_f16_e32 v15, v17, v15
	v_sub_f16_e32 v17, v19, v18
	v_fmac_f16_e32 v42, 0xb8b4, v80
	v_fmac_f16_e32 v23, 0x34f2, v26
	;; [unrolled: 1-line block ×3, first 2 shown]
	v_mul_f16_e32 v18, 0x38b4, v62
	v_mul_f16_e32 v26, 0xb8b4, v60
	v_fmac_f16_e32 v39, 0x34f2, v28
	v_fmac_f16_e32 v9, 0x34f2, v28
	v_mul_f16_e32 v19, 0x3b9c, v63
	v_mul_f16_e32 v21, 0x34f2, v10
	;; [unrolled: 1-line block ×3, first 2 shown]
	v_pack_b32_f16 v16, v16, v20
	v_mul_f16_e32 v20, 0x34f2, v68
	v_fmac_f16_e32 v30, 0x38b4, v80
	v_mul_f16_e32 v22, 0x3a79, v33
	v_pack_b32_f16 v15, v15, v17
	v_mul_f16_e32 v17, 0x3a79, v41
	v_fmac_f16_e32 v42, 0x34f2, v29
	v_fmac_f16_e32 v18, 0x3a79, v60
	;; [unrolled: 1-line block ×6, first 2 shown]
	v_fma_f16 v21, v68, 0x3b9c, -v21
	v_fmac_f16_e32 v28, 0x34f2, v63
	v_fma_f16 v10, v10, 0xbb9c, -v20
	v_fmac_f16_e32 v30, 0x34f2, v29
	v_fma_f16 v22, v41, 0x38b4, -v22
	v_fma_f16 v17, v33, 0xb8b4, -v17
	v_add_f16_e32 v20, v23, v18
	v_add_f16_e32 v33, v42, v26
	;; [unrolled: 1-line block ×8, first 2 shown]
	v_sub_f16_e32 v18, v23, v18
	v_sub_f16_e32 v19, v39, v19
	;; [unrolled: 1-line block ×8, first 2 shown]
	v_pack_b32_f16 v14, v20, v33
	v_pack_b32_f16 v17, v29, v34
	;; [unrolled: 1-line block ×8, first 2 shown]
	ds_write2_b32 v58, v16, v14 offset1:5
	ds_write2_b32 v58, v17, v20 offset0:10 offset1:15
	ds_write2_b32 v58, v23, v15 offset0:20 offset1:25
	;; [unrolled: 1-line block ×4, first 2 shown]
	s_waitcnt lgkmcnt(0)
	s_barrier
	buffer_gl0_inv
	ds_read2_b32 v[21:22], v49 offset1:135
	ds_read2_b32 v[19:20], v13 offset0:14 offset1:194
	ds_read2_b32 v[25:26], v24 offset0:4 offset1:139
	;; [unrolled: 1-line block ×3, first 2 shown]
	ds_read_b32 v28, v49 offset:4680
                                        ; kill: def $vgpr9 killed $sgpr0 killed $exec
                                        ; implicit-def: $vgpr29
                                        ; implicit-def: $vgpr31
                                        ; implicit-def: $vgpr30
                                        ; implicit-def: $vgpr32
	s_and_saveexec_b32 s0, vcc_lo
	s_cbranch_execz .LBB0_3
; %bb.2:
	ds_read_b32 v36, v49 offset:1620
	ds_read_b32 v29, v49 offset:3420
	ds_read_b32 v30, v49 offset:5220
	s_waitcnt lgkmcnt(2)
	v_lshrrev_b32_e32 v37, 16, v36
	s_waitcnt lgkmcnt(1)
	v_lshrrev_b32_e32 v31, 16, v29
	;; [unrolled: 2-line block ×3, first 2 shown]
.LBB0_3:
	s_or_b32 exec_lo, exec_lo, s0
	v_and_b32_e32 v9, 0xff, v51
	v_lshrrev_b16 v10, 1, v66
	v_mov_b32_e32 v11, 0x147b
	v_add_co_u32 v17, s0, 0x10e, v51
	v_add_co_ci_u32_e64 v18, null, 0, 0, s0
	v_add_co_u32 v67, s0, 0x195, v51
	v_mul_lo_u16 v9, v9, 41
	v_mul_u32_u24_sdwa v10, v10, v11 dst_sel:DWORD dst_unused:UNUSED_PAD src0_sel:WORD_0 src1_sel:DWORD
	v_lshrrev_b16 v38, 1, v17
	v_lshrrev_b16 v39, 1, v67
	v_add_co_ci_u32_e64 v68, null, 0, 0, s0
	v_lshrrev_b16 v40, 11, v9
	v_lshrrev_b32_e32 v41, 17, v10
	v_mul_u32_u24_sdwa v9, v38, v11 dst_sel:DWORD dst_unused:UNUSED_PAD src0_sel:WORD_0 src1_sel:DWORD
	v_mul_u32_u24_sdwa v10, v39, v11 dst_sel:DWORD dst_unused:UNUSED_PAD src0_sel:WORD_0 src1_sel:DWORD
	v_mov_b32_e32 v63, 0x96
	v_mul_lo_u16 v11, v40, 50
	v_mul_lo_u16 v12, v41, 50
	v_lshrrev_b32_e32 v42, 17, v9
	v_lshrrev_b32_e32 v9, 17, v10
	s_waitcnt lgkmcnt(2)
	v_lshrrev_b32_e32 v64, 16, v25
	v_sub_nc_u16 v10, v51, v11
	v_sub_nc_u16 v60, v66, v12
	v_mul_lo_u16 v11, v42, 50
	v_mul_lo_u16 v9, v9, 50
	v_mul_u32_u24_sdwa v40, v40, v63 dst_sel:DWORD dst_unused:UNUSED_PAD src0_sel:WORD_0 src1_sel:DWORD
	v_and_b32_e32 v61, 0xff, v10
	v_lshlrev_b16 v10, 3, v60
	v_sub_nc_u16 v62, v17, v11
	v_sub_nc_u16 v59, v67, v9
	v_mad_u16 v41, 0x96, v41, v60
	v_lshlrev_b32_e32 v9, 3, v61
	v_and_b32_e32 v10, 0xffff, v10
	v_lshlrev_b16 v11, 3, v62
	v_lshlrev_b16 v12, 3, v59
	v_mad_u16 v42, 0x96, v42, v62
	global_load_dwordx2 v[15:16], v9, s[14:15] offset:180
	v_add_co_u32 v9, s0, s14, v10
	v_add_co_ci_u32_e64 v10, null, s15, 0, s0
	v_and_b32_e32 v11, 0xffff, v11
	v_and_b32_e32 v12, 0xffff, v12
	s_waitcnt lgkmcnt(1)
	v_lshrrev_b32_e32 v69, 16, v23
	global_load_dwordx2 v[13:14], v[9:10], off offset:180
	v_lshrrev_b32_e32 v70, 16, v26
	v_add_co_u32 v9, s0, s14, v11
	v_add_co_ci_u32_e64 v10, null, s15, 0, s0
	v_add_co_u32 v33, s0, s14, v12
	v_add_co_ci_u32_e64 v34, null, s15, 0, s0
	s_clause 0x1
	global_load_dwordx2 v[11:12], v[9:10], off offset:180
	global_load_dwordx2 v[9:10], v[33:34], off offset:180
	v_lshrrev_b32_e32 v34, 16, v20
	v_add_lshl_u32 v63, v40, v61, 2
	v_lshlrev_b32_sdwa v62, v27, v41 dst_sel:DWORD dst_unused:UNUSED_PAD src0_sel:DWORD src1_sel:WORD_0
	v_lshlrev_b32_sdwa v61, v27, v42 dst_sel:DWORD dst_unused:UNUSED_PAD src0_sel:DWORD src1_sel:WORD_0
	v_lshrrev_b32_e32 v33, 16, v21
	v_lshrrev_b32_e32 v60, 16, v24
	s_waitcnt lgkmcnt(0)
	v_lshrrev_b32_e32 v71, 16, v28
	v_lshrrev_b32_e32 v65, 16, v22
	;; [unrolled: 1-line block ×3, first 2 shown]
	s_waitcnt vmcnt(0)
	s_barrier
	buffer_gl0_inv
	v_mul_f16_sdwa v27, v34, v15 dst_sel:DWORD dst_unused:UNUSED_PAD src0_sel:DWORD src1_sel:WORD_1
	v_mul_f16_sdwa v40, v20, v15 dst_sel:DWORD dst_unused:UNUSED_PAD src0_sel:DWORD src1_sel:WORD_1
	;; [unrolled: 1-line block ×4, first 2 shown]
	v_fma_f16 v20, v20, v15, -v27
	v_fmac_f16_e32 v40, v34, v15
	v_fma_f16 v25, v25, v16, -v41
	v_mul_f16_sdwa v27, v69, v13 dst_sel:DWORD dst_unused:UNUSED_PAD src0_sel:DWORD src1_sel:WORD_1
	v_mul_f16_sdwa v34, v23, v13 dst_sel:DWORD dst_unused:UNUSED_PAD src0_sel:DWORD src1_sel:WORD_1
	;; [unrolled: 1-line block ×4, first 2 shown]
	v_fmac_f16_e32 v42, v64, v16
	v_fma_f16 v23, v23, v13, -v27
	v_fmac_f16_e32 v34, v69, v13
	v_fma_f16 v26, v26, v14, -v41
	v_fmac_f16_e32 v73, v70, v14
	v_sub_f16_e32 v79, v40, v42
	v_add_f16_e32 v80, v33, v40
	v_mul_f16_sdwa v27, v60, v11 dst_sel:DWORD dst_unused:UNUSED_PAD src0_sel:DWORD src1_sel:WORD_1
	v_mul_f16_sdwa v41, v24, v11 dst_sel:DWORD dst_unused:UNUSED_PAD src0_sel:DWORD src1_sel:WORD_1
	v_mul_f16_sdwa v64, v71, v12 dst_sel:DWORD dst_unused:UNUSED_PAD src0_sel:DWORD src1_sel:WORD_1
	v_mul_f16_sdwa v69, v28, v12 dst_sel:DWORD dst_unused:UNUSED_PAD src0_sel:DWORD src1_sel:WORD_1
	v_mul_f16_sdwa v70, v31, v9 dst_sel:DWORD dst_unused:UNUSED_PAD src0_sel:DWORD src1_sel:WORD_1
	v_mul_f16_sdwa v74, v29, v9 dst_sel:DWORD dst_unused:UNUSED_PAD src0_sel:DWORD src1_sel:WORD_1
	v_mul_f16_sdwa v75, v32, v10 dst_sel:DWORD dst_unused:UNUSED_PAD src0_sel:DWORD src1_sel:WORD_1
	v_mul_f16_sdwa v76, v30, v10 dst_sel:DWORD dst_unused:UNUSED_PAD src0_sel:DWORD src1_sel:WORD_1
	v_add_f16_e32 v40, v40, v42
	v_add_f16_e32 v77, v21, v20
	;; [unrolled: 1-line block ×3, first 2 shown]
	v_sub_f16_e32 v20, v20, v25
	v_fma_f16 v24, v24, v11, -v27
	v_fmac_f16_e32 v41, v60, v11
	v_fma_f16 v27, v28, v12, -v64
	v_fmac_f16_e32 v69, v71, v12
	;; [unrolled: 2-line block ×4, first 2 shown]
	v_add_f16_e32 v30, v80, v42
	v_fmac_f16_e32 v33, -0.5, v40
	v_add_f16_e32 v31, v22, v23
	v_add_f16_e32 v32, v23, v26
	v_sub_f16_e32 v40, v34, v73
	v_add_f16_e32 v42, v65, v34
	v_add_f16_e32 v34, v34, v73
	v_fma_f16 v21, -0.5, v78, v21
	v_sub_f16_e32 v23, v23, v26
	v_fmamk_f16 v64, v20, 0xbaee, v33
	v_fmac_f16_e32 v33, 0x3aee, v20
	v_add_f16_e32 v20, v31, v26
	v_fmac_f16_e32 v22, -0.5, v32
	v_add_f16_e32 v26, v42, v73
	v_fmac_f16_e32 v65, -0.5, v34
	v_add_f16_e32 v32, v24, v27
	v_sub_f16_e32 v34, v41, v69
	v_add_f16_e32 v42, v72, v41
	v_add_f16_e32 v41, v41, v69
	v_add_f16_e32 v71, v28, v29
	v_sub_f16_e32 v73, v74, v76
	v_add_f16_e32 v75, v37, v74
	v_add_f16_e32 v74, v74, v76
	;; [unrolled: 1-line block ×3, first 2 shown]
	v_fmamk_f16 v60, v79, 0x3aee, v21
	v_add_f16_e32 v31, v19, v24
	v_sub_f16_e32 v24, v24, v27
	v_add_f16_e32 v70, v36, v28
	v_fmac_f16_e32 v19, -0.5, v32
	v_fmac_f16_e32 v72, -0.5, v41
	v_fmac_f16_e32 v21, 0xbaee, v79
	v_sub_f16_e32 v28, v28, v29
	v_fmac_f16_e32 v36, -0.5, v71
	v_fmac_f16_e32 v37, -0.5, v74
	v_pack_b32_f16 v25, v25, v30
	v_fmamk_f16 v30, v40, 0x3aee, v22
	v_fmamk_f16 v77, v23, 0xbaee, v65
	v_fmac_f16_e32 v22, 0xbaee, v40
	v_fmac_f16_e32 v65, 0x3aee, v23
	v_add_f16_e32 v23, v31, v27
	v_add_f16_e32 v27, v42, v69
	;; [unrolled: 1-line block ×3, first 2 shown]
	v_pack_b32_f16 v29, v60, v64
	v_pack_b32_f16 v20, v20, v26
	v_fmamk_f16 v26, v34, 0x3aee, v19
	v_fmamk_f16 v31, v24, 0xbaee, v72
	v_fmac_f16_e32 v19, 0xbaee, v34
	v_fmac_f16_e32 v72, 0x3aee, v24
	v_add_f16_e32 v70, v75, v76
	v_pack_b32_f16 v21, v21, v33
	v_fmamk_f16 v40, v73, 0x3aee, v36
	v_fmac_f16_e32 v36, 0xbaee, v73
	v_fmamk_f16 v71, v28, 0xbaee, v37
	v_fmac_f16_e32 v37, 0x3aee, v28
	v_pack_b32_f16 v24, v30, v77
	v_pack_b32_f16 v22, v22, v65
	ds_write2_b32 v63, v25, v29 offset1:50
	v_pack_b32_f16 v23, v23, v27
	v_pack_b32_f16 v25, v26, v31
	;; [unrolled: 1-line block ×3, first 2 shown]
	ds_write_b32 v63, v21 offset:400
	ds_write2_b32 v62, v20, v24 offset1:50
	ds_write_b32 v62, v22 offset:400
	ds_write2_b32 v61, v23, v25 offset1:50
	ds_write_b32 v61, v19 offset:400
	s_and_saveexec_b32 s0, vcc_lo
	s_cbranch_execz .LBB0_5
; %bb.4:
	v_mov_b32_e32 v19, 2
	v_perm_b32 v20, v70, v69, 0x5040100
	v_perm_b32 v21, v71, v40, 0x5040100
	v_perm_b32 v23, v37, v36, 0x5040100
	v_lshlrev_b32_sdwa v19, v19, v59 dst_sel:DWORD dst_unused:UNUSED_PAD src0_sel:DWORD src1_sel:WORD_0
	v_add_nc_u32_e32 v22, 0x1000, v19
	ds_write2_b32 v22, v20, v21 offset0:176 offset1:226
	ds_write_b32 v19, v23 offset:5200
.LBB0_5:
	s_or_b32 exec_lo, exec_lo, s0
	v_add_nc_u32_e32 v19, 0x400, v49
	v_add_nc_u32_e32 v20, 0xe00, v49
	;; [unrolled: 1-line block ×3, first 2 shown]
	s_waitcnt lgkmcnt(0)
	s_barrier
	buffer_gl0_inv
	ds_read2_b32 v[29:30], v49 offset1:135
	ds_read2_b32 v[27:28], v19 offset0:14 offset1:194
	ds_read2_b32 v[33:34], v20 offset0:4 offset1:139
	ds_read2_b32 v[31:32], v21 offset0:73 offset1:208
	ds_read_b32 v72, v49 offset:4680
	s_and_saveexec_b32 s0, vcc_lo
	s_cbranch_execz .LBB0_7
; %bb.6:
	ds_read_b32 v69, v49 offset:1620
	ds_read_b32 v40, v49 offset:3420
	ds_read_b32 v36, v49 offset:5220
	s_waitcnt lgkmcnt(2)
	v_lshrrev_b32_e32 v70, 16, v69
	s_waitcnt lgkmcnt(1)
	v_lshrrev_b32_e32 v71, 16, v40
	;; [unrolled: 2-line block ×3, first 2 shown]
.LBB0_7:
	s_or_b32 exec_lo, exec_lo, s0
	v_add_co_u32 v21, s0, v51, -15
	v_add_co_ci_u32_e64 v22, null, 0, -1, s0
	v_cmp_gt_u16_e64 s0, 15, v51
	v_mov_b32_e32 v23, 0xda75
	v_lshlrev_b32_e32 v41, 3, v51
	s_waitcnt lgkmcnt(2)
	v_lshrrev_b32_e32 v73, 16, v33
	s_waitcnt lgkmcnt(1)
	v_lshrrev_b32_e32 v75, 16, v31
	v_cndmask_b32_e64 v65, v22, v35, s0
	v_cndmask_b32_e64 v64, v21, v66, s0
	v_mul_u32_u24_sdwa v24, v38, v23 dst_sel:DWORD dst_unused:UNUSED_PAD src0_sel:WORD_0 src1_sel:DWORD
	v_mul_u32_u24_sdwa v23, v39, v23 dst_sel:DWORD dst_unused:UNUSED_PAD src0_sel:WORD_0 src1_sel:DWORD
	global_load_dwordx2 v[19:20], v41, s[14:15] offset:580
	v_mov_b32_e32 v35, 2
	v_lshlrev_b64 v[21:22], 3, v[64:65]
	v_lshrrev_b32_e32 v42, 22, v24
	v_lshrrev_b32_e32 v23, 22, v23
	;; [unrolled: 1-line block ×5, first 2 shown]
	v_add_co_u32 v21, s0, s14, v21
	v_add_co_ci_u32_e64 v22, s0, s15, v22, s0
	v_mul_lo_u16 v24, 0x96, v42
	s_waitcnt lgkmcnt(0)
	v_lshrrev_b32_e32 v79, 16, v72
	v_lshrrev_b32_e32 v77, 16, v27
	global_load_dwordx2 v[25:26], v[21:22], off offset:580
	v_mul_lo_u16 v21, 0x96, v23
	v_sub_nc_u16 v65, v17, v24
	v_sub_nc_u16 v60, v67, v21
	v_lshlrev_b16 v21, 3, v65
	v_mad_u16 v81, 0x1c2, v42, v65
	v_lshlrev_b16 v22, 3, v60
	v_and_b32_e32 v21, 0xffff, v21
	v_and_b32_e32 v23, 0xffff, v22
	v_add_co_u32 v21, s0, s14, v21
	v_add_co_ci_u32_e64 v22, null, s15, 0, s0
	v_add_co_u32 v38, s0, s14, v23
	v_add_co_ci_u32_e64 v39, null, s15, 0, s0
	s_clause 0x1
	global_load_dwordx2 v[23:24], v[21:22], off offset:580
	global_load_dwordx2 v[21:22], v[38:39], off offset:580
	v_cmp_lt_u16_e64 s0, 14, v51
	v_lshrrev_b32_e32 v39, 16, v28
	v_lshrrev_b32_e32 v38, 16, v29
	s_waitcnt vmcnt(0)
	s_barrier
	v_cndmask_b32_e64 v80, 0, 0x1c2, s0
	buffer_gl0_inv
	v_add_co_u32 v41, s0, s14, v41
	v_add_co_ci_u32_e64 v42, null, s15, 0, s0
	v_add_lshl_u32 v65, v64, v80, 2
	v_lshlrev_b32_sdwa v64, v35, v81 dst_sel:DWORD dst_unused:UNUSED_PAD src0_sel:DWORD src1_sel:WORD_0
	v_mul_f16_sdwa v80, v39, v19 dst_sel:DWORD dst_unused:UNUSED_PAD src0_sel:DWORD src1_sel:WORD_1
	v_mul_f16_sdwa v81, v28, v19 dst_sel:DWORD dst_unused:UNUSED_PAD src0_sel:DWORD src1_sel:WORD_1
	;; [unrolled: 1-line block ×4, first 2 shown]
	v_fma_f16 v28, v28, v19, -v80
	v_fmac_f16_e32 v81, v39, v19
	v_fma_f16 v33, v33, v20, -v82
	v_fmac_f16_e32 v83, v73, v20
	v_add_f16_e32 v39, v29, v28
	v_add_f16_e32 v82, v38, v81
	;; [unrolled: 1-line block ×3, first 2 shown]
	v_sub_f16_e32 v80, v81, v83
	v_add_f16_e32 v81, v81, v83
	v_sub_f16_e32 v28, v28, v33
	v_add_f16_e32 v33, v39, v33
	v_fma_f16 v29, -0.5, v73, v29
	v_add_f16_e32 v39, v82, v83
	v_fmac_f16_e32 v38, -0.5, v81
	v_mul_f16_sdwa v73, v75, v25 dst_sel:DWORD dst_unused:UNUSED_PAD src0_sel:DWORD src1_sel:WORD_1
	v_mul_f16_sdwa v81, v31, v25 dst_sel:DWORD dst_unused:UNUSED_PAD src0_sel:DWORD src1_sel:WORD_1
	;; [unrolled: 1-line block ×4, first 2 shown]
	v_fmamk_f16 v84, v80, 0x3aee, v29
	v_fmac_f16_e32 v29, 0xbaee, v80
	v_fmamk_f16 v80, v28, 0xbaee, v38
	v_fmac_f16_e32 v38, 0x3aee, v28
	v_pack_b32_f16 v28, v33, v39
	v_fma_f16 v31, v31, v25, -v73
	v_fmac_f16_e32 v81, v75, v25
	v_fma_f16 v33, v34, v26, -v82
	v_fmac_f16_e32 v83, v76, v26
	v_pack_b32_f16 v34, v84, v80
	v_pack_b32_f16 v29, v29, v38
	v_add_f16_e32 v38, v30, v31
	v_add_f16_e32 v39, v31, v33
	;; [unrolled: 1-line block ×4, first 2 shown]
	v_sub_f16_e32 v73, v81, v83
	v_sub_f16_e32 v31, v31, v33
	ds_write2_b32 v49, v28, v34 offset1:150
	ds_write_b32 v49, v29 offset:1200
	v_add_f16_e32 v28, v38, v33
	v_fmac_f16_e32 v30, -0.5, v39
	v_add_f16_e32 v29, v75, v83
	v_fmac_f16_e32 v74, -0.5, v76
	v_mul_f16_sdwa v33, v78, v23 dst_sel:DWORD dst_unused:UNUSED_PAD src0_sel:DWORD src1_sel:WORD_1
	v_mul_f16_sdwa v34, v32, v23 dst_sel:DWORD dst_unused:UNUSED_PAD src0_sel:DWORD src1_sel:WORD_1
	;; [unrolled: 1-line block ×8, first 2 shown]
	v_fmamk_f16 v82, v73, 0x3aee, v30
	v_fmac_f16_e32 v30, 0xbaee, v73
	v_fmamk_f16 v73, v31, 0xbaee, v74
	v_fmac_f16_e32 v74, 0x3aee, v31
	v_pack_b32_f16 v28, v28, v29
	v_fma_f16 v29, v32, v23, -v33
	v_fmac_f16_e32 v34, v78, v23
	v_fma_f16 v31, v72, v24, -v38
	v_fmac_f16_e32 v39, v79, v24
	;; [unrolled: 2-line block ×4, first 2 shown]
	v_add_f16_e32 v38, v29, v31
	v_sub_f16_e32 v40, v34, v39
	v_add_f16_e32 v71, v77, v34
	v_add_f16_e32 v34, v34, v39
	v_pack_b32_f16 v36, v82, v73
	v_pack_b32_f16 v30, v30, v74
	v_add_f16_e32 v73, v32, v33
	v_sub_f16_e32 v74, v76, v81
	v_add_f16_e32 v75, v70, v76
	v_add_f16_e32 v76, v76, v81
	;; [unrolled: 1-line block ×3, first 2 shown]
	v_sub_f16_e32 v29, v29, v31
	v_add_f16_e32 v72, v69, v32
	v_fmac_f16_e32 v27, -0.5, v38
	v_fmac_f16_e32 v77, -0.5, v34
	v_sub_f16_e32 v32, v32, v33
	v_fmac_f16_e32 v69, -0.5, v73
	v_fmac_f16_e32 v70, -0.5, v76
	v_add_f16_e32 v31, v37, v31
	v_add_f16_e32 v37, v71, v39
	;; [unrolled: 1-line block ×3, first 2 shown]
	v_fmamk_f16 v33, v40, 0x3aee, v27
	v_fmamk_f16 v34, v29, 0xbaee, v77
	v_fmac_f16_e32 v27, 0xbaee, v40
	v_fmac_f16_e32 v77, 0x3aee, v29
	v_add_f16_e32 v72, v75, v81
	v_fmamk_f16 v73, v74, 0x3aee, v69
	v_fmac_f16_e32 v69, 0xbaee, v74
	v_fmamk_f16 v75, v32, 0xbaee, v70
	v_fmac_f16_e32 v70, 0x3aee, v32
	v_pack_b32_f16 v29, v31, v37
	v_pack_b32_f16 v31, v33, v34
	;; [unrolled: 1-line block ×3, first 2 shown]
	ds_write2_b32 v65, v28, v36 offset1:150
	ds_write_b32 v65, v30 offset:1200
	ds_write2_b32 v64, v29, v31 offset1:150
	ds_write_b32 v64, v27 offset:1200
	s_and_saveexec_b32 s0, vcc_lo
	s_cbranch_execz .LBB0_9
; %bb.8:
	v_lshlrev_b32_sdwa v27, v35, v60 dst_sel:DWORD dst_unused:UNUSED_PAD src0_sel:DWORD src1_sel:WORD_0
	v_perm_b32 v28, v72, v71, 0x5040100
	v_perm_b32 v29, v75, v73, 0x5040100
	;; [unrolled: 1-line block ×3, first 2 shown]
	v_add_nc_u32_e32 v30, 0xe00, v27
	ds_write2_b32 v30, v28, v29 offset0:4 offset1:154
	ds_write_b32 v27, v31 offset:4800
.LBB0_9:
	s_or_b32 exec_lo, exec_lo, s0
	v_add_nc_u32_e32 v27, 0x400, v49
	v_add_nc_u32_e32 v28, 0xe00, v49
	v_add_nc_u32_e32 v74, 0x800, v49
	s_waitcnt lgkmcnt(0)
	s_barrier
	buffer_gl0_inv
	ds_read2_b32 v[35:36], v49 offset1:135
	ds_read2_b32 v[33:34], v27 offset0:14 offset1:194
	ds_read2_b32 v[39:40], v28 offset0:4 offset1:139
	;; [unrolled: 1-line block ×3, first 2 shown]
	ds_read_b32 v76, v49 offset:4680
	s_and_saveexec_b32 s0, vcc_lo
	s_cbranch_execz .LBB0_11
; %bb.10:
	ds_read_b32 v71, v49 offset:1620
	ds_read_b32 v73, v49 offset:3420
	;; [unrolled: 1-line block ×3, first 2 shown]
	s_waitcnt lgkmcnt(2)
	v_lshrrev_b32_e32 v72, 16, v71
	s_waitcnt lgkmcnt(1)
	v_lshrrev_b32_e32 v75, 16, v73
	;; [unrolled: 2-line block ×3, first 2 shown]
.LBB0_11:
	s_or_b32 exec_lo, exec_lo, s0
	v_lshlrev_b64 v[17:18], 3, v[17:18]
	v_lshlrev_b32_e32 v27, 3, v66
	global_load_dwordx2 v[29:30], v[41:42], off offset:1780
	s_waitcnt lgkmcnt(3)
	v_lshrrev_b32_e32 v66, 16, v34
	s_waitcnt lgkmcnt(1)
	v_lshrrev_b32_e32 v77, 16, v37
	v_lshrrev_b32_e32 v78, 16, v40
	v_add_co_u32 v17, s0, s14, v17
	v_add_co_ci_u32_e64 v18, s0, s15, v18, s0
	global_load_dwordx2 v[27:28], v27, s[14:15] offset:1780
	v_lshrrev_b32_e32 v80, 16, v38
	s_waitcnt lgkmcnt(0)
	v_lshrrev_b32_e32 v81, 16, v76
	global_load_dwordx2 v[31:32], v[17:18], off offset:1780
	v_add_co_u32 v17, s0, 0xffffffd3, v51
	v_add_co_ci_u32_e64 v18, null, 0, -1, s0
	v_lshrrev_b32_e32 v42, 16, v35
	v_cndmask_b32_e32 v17, v17, v67, vcc_lo
	v_lshrrev_b32_e32 v67, 16, v39
	v_cndmask_b32_e32 v18, v18, v68, vcc_lo
	v_lshrrev_b32_e32 v68, 16, v36
	v_lshrrev_b32_e32 v79, 16, v33
	v_add_nc_u32_e32 v41, 0x1000, v49
	v_lshlrev_b64 v[17:18], 3, v[17:18]
	v_add_co_u32 v17, s0, s14, v17
	v_add_co_ci_u32_e64 v18, s0, s15, v18, s0
	global_load_dwordx2 v[17:18], v[17:18], off offset:1780
	s_waitcnt vmcnt(3)
	v_mul_f16_sdwa v82, v66, v29 dst_sel:DWORD dst_unused:UNUSED_PAD src0_sel:DWORD src1_sel:WORD_1
	v_mul_f16_sdwa v83, v34, v29 dst_sel:DWORD dst_unused:UNUSED_PAD src0_sel:DWORD src1_sel:WORD_1
	;; [unrolled: 1-line block ×4, first 2 shown]
	v_fma_f16 v34, v34, v29, -v82
	v_fmac_f16_e32 v83, v66, v29
	v_fma_f16 v39, v39, v30, -v84
	s_waitcnt vmcnt(2)
	v_mul_f16_sdwa v66, v77, v27 dst_sel:DWORD dst_unused:UNUSED_PAD src0_sel:DWORD src1_sel:WORD_1
	v_mul_f16_sdwa v82, v37, v27 dst_sel:DWORD dst_unused:UNUSED_PAD src0_sel:DWORD src1_sel:WORD_1
	;; [unrolled: 1-line block ×3, first 2 shown]
	v_fmac_f16_e32 v85, v67, v30
	v_mul_f16_sdwa v84, v78, v28 dst_sel:DWORD dst_unused:UNUSED_PAD src0_sel:DWORD src1_sel:WORD_1
	v_fma_f16 v37, v37, v27, -v66
	v_fmac_f16_e32 v82, v77, v27
	v_fmac_f16_e32 v86, v78, v28
	v_add_f16_e32 v66, v35, v34
	v_add_f16_e32 v67, v34, v39
	v_sub_f16_e32 v77, v83, v85
	v_add_f16_e32 v78, v42, v83
	v_add_f16_e32 v83, v83, v85
	v_fma_f16 v40, v40, v28, -v84
	v_sub_f16_e32 v34, v34, v39
	s_waitcnt vmcnt(1)
	v_mul_f16_sdwa v84, v80, v31 dst_sel:DWORD dst_unused:UNUSED_PAD src0_sel:DWORD src1_sel:WORD_1
	v_mul_f16_sdwa v87, v38, v31 dst_sel:DWORD dst_unused:UNUSED_PAD src0_sel:DWORD src1_sel:WORD_1
	;; [unrolled: 1-line block ×4, first 2 shown]
	v_add_f16_e32 v39, v66, v39
	v_fma_f16 v35, -0.5, v67, v35
	v_add_f16_e32 v66, v78, v85
	v_fmac_f16_e32 v42, -0.5, v83
	v_add_f16_e32 v67, v36, v37
	v_add_f16_e32 v85, v68, v82
	;; [unrolled: 1-line block ×3, first 2 shown]
	v_sub_f16_e32 v83, v82, v86
	v_add_f16_e32 v82, v82, v86
	v_sub_f16_e32 v90, v37, v40
	v_fma_f16 v84, v38, v31, -v84
	v_fmac_f16_e32 v87, v80, v31
	v_fma_f16 v76, v76, v32, -v88
	v_fmac_f16_e32 v89, v81, v32
	v_fmamk_f16 v80, v77, 0x3aee, v35
	v_fmac_f16_e32 v35, 0xbaee, v77
	v_fmamk_f16 v77, v34, 0xbaee, v42
	v_fmac_f16_e32 v42, 0x3aee, v34
	v_add_f16_e32 v34, v67, v40
	v_add_f16_e32 v40, v85, v86
	v_pack_b32_f16 v66, v39, v66
	s_waitcnt vmcnt(0)
	v_mul_f16_sdwa v39, v75, v17 dst_sel:DWORD dst_unused:UNUSED_PAD src0_sel:DWORD src1_sel:WORD_1
	v_mul_f16_sdwa v38, v73, v17 dst_sel:DWORD dst_unused:UNUSED_PAD src0_sel:DWORD src1_sel:WORD_1
	;; [unrolled: 1-line block ×4, first 2 shown]
	v_fmac_f16_e32 v36, -0.5, v78
	v_fmac_f16_e32 v68, -0.5, v82
	v_add_f16_e32 v78, v33, v84
	v_add_f16_e32 v81, v84, v76
	v_add_f16_e32 v85, v79, v87
	v_add_f16_e32 v86, v87, v89
	v_pack_b32_f16 v77, v80, v77
	v_pack_b32_f16 v80, v34, v40
	v_fma_f16 v39, v73, v17, -v39
	v_fmac_f16_e32 v38, v75, v17
	v_fma_f16 v40, v69, v18, -v67
	v_fmac_f16_e32 v37, v70, v18
	v_sub_f16_e32 v82, v87, v89
	v_sub_f16_e32 v84, v84, v76
	v_fmamk_f16 v87, v83, 0x3aee, v36
	v_fmac_f16_e32 v36, 0xbaee, v83
	v_fmamk_f16 v83, v90, 0xbaee, v68
	v_fmac_f16_e32 v68, 0x3aee, v90
	v_pack_b32_f16 v42, v35, v42
	v_add_f16_e32 v35, v78, v76
	v_fmac_f16_e32 v33, -0.5, v81
	v_add_f16_e32 v67, v85, v89
	v_fmac_f16_e32 v79, -0.5, v86
	v_add_f16_e32 v34, v39, v40
	v_add_f16_e32 v73, v38, v37
	v_pack_b32_f16 v68, v36, v68
	v_fmamk_f16 v36, v82, 0x3aee, v33
	v_fmac_f16_e32 v33, 0xbaee, v82
	v_fmamk_f16 v70, v84, 0xbaee, v79
	v_fmac_f16_e32 v79, 0x3aee, v84
	v_sub_f16_e32 v75, v38, v37
	v_sub_f16_e32 v76, v39, v40
	v_fma_f16 v34, -0.5, v34, v71
	v_pack_b32_f16 v67, v35, v67
	v_fma_f16 v35, -0.5, v73, v72
	v_pack_b32_f16 v70, v36, v70
	v_pack_b32_f16 v73, v33, v79
	v_fmamk_f16 v33, v75, 0x3aee, v34
	v_fmac_f16_e32 v34, 0xbaee, v75
	v_fmamk_f16 v36, v76, 0xbaee, v35
	v_fmac_f16_e32 v35, 0x3aee, v76
	v_pack_b32_f16 v69, v87, v83
	ds_write_b32 v49, v77 offset:1800
	ds_write_b32 v49, v42 offset:3600
	ds_write2_b32 v49, v66, v80 offset1:135
	ds_write_b32 v49, v67 offset:1080
	ds_write2_b32 v74, v69, v70 offset0:73 offset1:208
	ds_write2_b32 v41, v68, v73 offset0:11 offset1:146
	s_and_saveexec_b32 s0, vcc_lo
	s_cbranch_execz .LBB0_13
; %bb.12:
	v_add_f16_e32 v38, v72, v38
	v_add_f16_e32 v39, v71, v39
	;; [unrolled: 1-line block ×4, first 2 shown]
	v_perm_b32 v39, v36, v33, 0x5040100
	v_pack_b32_f16 v37, v38, v37
	v_perm_b32 v38, v35, v34, 0x5040100
	ds_write_b32 v49, v39 offset:3420
	ds_write_b32 v49, v37 offset:1620
	;; [unrolled: 1-line block ×3, first 2 shown]
.LBB0_13:
	s_or_b32 exec_lo, exec_lo, s0
	v_lshlrev_b32_e32 v37, 2, v51
	s_waitcnt lgkmcnt(0)
	s_barrier
	buffer_gl0_inv
	v_add_nc_u32_e32 v81, 0xc00, v49
	v_add_co_u32 v42, s0, s12, v37
	v_add_co_ci_u32_e64 v69, null, s13, 0, s0
	v_add_nc_u32_e32 v85, 0xa00, v49
	v_add_co_u32 v37, s0, 0x1000, v42
	v_add_co_ci_u32_e64 v38, s0, 0, v69, s0
	v_add_co_u32 v66, s1, 0x2000, v42
	global_load_dword v70, v[37:38], off offset:1304
	v_add_co_u32 v37, s0, 0x1518, v42
	v_add_co_ci_u32_e64 v38, s0, 0, v69, s0
	v_add_co_u32 v39, s0, 0x1800, v42
	v_add_co_ci_u32_e64 v40, s0, 0, v69, s0
	global_load_dword v74, v[37:38], off offset:540
	v_add_co_ci_u32_e64 v67, s0, 0, v69, s1
	v_add_co_u32 v68, s0, 0x2800, v42
	s_clause 0x4
	global_load_dword v75, v[37:38], off offset:1080
	global_load_dword v76, v[39:40], off offset:1416
	;; [unrolled: 1-line block ×5, first 2 shown]
	v_add_co_ci_u32_e64 v69, s0, 0, v69, s0
	s_clause 0x2
	global_load_dword v40, v[39:40], off offset:1956
	global_load_dword v79, v[66:67], off offset:988
	;; [unrolled: 1-line block ×3, first 2 shown]
	ds_read2_b32 v[38:39], v49 offset1:135
	s_waitcnt lgkmcnt(0)
	v_lshrrev_b32_e32 v37, 16, v38
	v_lshrrev_b32_e32 v82, 16, v39
	s_waitcnt vmcnt(9)
	v_mul_f16_sdwa v66, v37, v70 dst_sel:DWORD dst_unused:UNUSED_PAD src0_sel:DWORD src1_sel:WORD_1
	v_mul_f16_sdwa v67, v38, v70 dst_sel:DWORD dst_unused:UNUSED_PAD src0_sel:DWORD src1_sel:WORD_1
	v_fma_f16 v38, v38, v70, -v66
	v_fmac_f16_e32 v67, v37, v70
	v_add_nc_u32_e32 v37, 0x800, v49
	s_waitcnt vmcnt(8)
	v_mul_f16_sdwa v83, v82, v74 dst_sel:DWORD dst_unused:UNUSED_PAD src0_sel:DWORD src1_sel:WORD_1
	v_mul_f16_sdwa v84, v39, v74 dst_sel:DWORD dst_unused:UNUSED_PAD src0_sel:DWORD src1_sel:WORD_1
	v_pack_b32_f16 v66, v38, v67
	v_add_nc_u32_e32 v38, 0x400, v49
	v_fma_f16 v83, v39, v74, -v83
	v_fmac_f16_e32 v84, v82, v74
	ds_write_b32 v49, v66
	ds_read2_b32 v[66:67], v38 offset0:14 offset1:149
	ds_read2_b32 v[68:69], v37 offset0:28 offset1:163
	ds_read2_b32 v[70:71], v81 offset0:42 offset1:177
	ds_read2_b32 v[72:73], v41 offset0:56 offset1:191
	v_add_nc_u32_e32 v74, 0x200, v49
	v_pack_b32_f16 v83, v83, v84
	v_add_nc_u32_e32 v82, 0x600, v49
	v_add_nc_u32_e32 v39, 0xe00, v49
	s_waitcnt lgkmcnt(3)
	v_lshrrev_b32_e32 v84, 16, v66
	s_waitcnt vmcnt(7)
	v_mul_f16_sdwa v86, v66, v75 dst_sel:DWORD dst_unused:UNUSED_PAD src0_sel:DWORD src1_sel:WORD_1
	s_waitcnt lgkmcnt(2)
	v_lshrrev_b32_e32 v87, 16, v68
	s_waitcnt vmcnt(6)
	v_mul_f16_sdwa v88, v68, v76 dst_sel:DWORD dst_unused:UNUSED_PAD src0_sel:DWORD src1_sel:WORD_1
	;; [unrolled: 4-line block ×4, first 2 shown]
	v_lshrrev_b32_e32 v93, 16, v67
	s_waitcnt vmcnt(3)
	v_mul_f16_sdwa v94, v67, v78 dst_sel:DWORD dst_unused:UNUSED_PAD src0_sel:DWORD src1_sel:WORD_1
	v_lshrrev_b32_e32 v95, 16, v69
	s_waitcnt vmcnt(2)
	v_mul_f16_sdwa v96, v69, v40 dst_sel:DWORD dst_unused:UNUSED_PAD src0_sel:DWORD src1_sel:WORD_1
	v_lshrrev_b32_e32 v97, 16, v71
	s_waitcnt vmcnt(1)
	v_mul_f16_sdwa v98, v71, v79 dst_sel:DWORD dst_unused:UNUSED_PAD src0_sel:DWORD src1_sel:WORD_1
	v_lshrrev_b32_e32 v99, 16, v73
	v_mul_f16_sdwa v101, v84, v75 dst_sel:DWORD dst_unused:UNUSED_PAD src0_sel:DWORD src1_sel:WORD_1
	v_fmac_f16_e32 v86, v84, v75
	v_mul_f16_sdwa v84, v87, v76 dst_sel:DWORD dst_unused:UNUSED_PAD src0_sel:DWORD src1_sel:WORD_1
	v_fmac_f16_e32 v88, v87, v76
	;; [unrolled: 2-line block ×6, first 2 shown]
	v_mul_f16_sdwa v95, v97, v79 dst_sel:DWORD dst_unused:UNUSED_PAD src0_sel:DWORD src1_sel:WORD_1
	s_waitcnt vmcnt(0)
	v_mul_f16_sdwa v100, v73, v80 dst_sel:DWORD dst_unused:UNUSED_PAD src0_sel:DWORD src1_sel:WORD_1
	v_fmac_f16_e32 v98, v97, v79
	v_mul_f16_sdwa v97, v99, v80 dst_sel:DWORD dst_unused:UNUSED_PAD src0_sel:DWORD src1_sel:WORD_1
	v_fma_f16 v66, v66, v75, -v101
	v_fma_f16 v68, v68, v76, -v84
	;; [unrolled: 1-line block ×7, first 2 shown]
	v_fmac_f16_e32 v100, v99, v80
	v_fma_f16 v71, v73, v80, -v97
	v_pack_b32_f16 v66, v66, v86
	v_pack_b32_f16 v68, v68, v88
	;; [unrolled: 1-line block ×8, first 2 shown]
	ds_write2_b32 v74, v83, v66 offset0:7 offset1:142
	ds_write2_b32 v82, v67, v68 offset0:21 offset1:156
	;; [unrolled: 1-line block ×4, first 2 shown]
	ds_write_b32 v49, v71 offset:4860
	s_waitcnt lgkmcnt(0)
	s_barrier
	buffer_gl0_inv
	ds_read2_b32 v[66:67], v49 offset1:135
	ds_read2_b32 v[68:69], v38 offset0:14 offset1:149
	ds_read2_b32 v[70:71], v37 offset0:28 offset1:163
	;; [unrolled: 1-line block ×4, first 2 shown]
	s_waitcnt lgkmcnt(0)
	s_barrier
	buffer_gl0_inv
	v_pk_add_f16 v40, v67, v69
	v_pk_add_f16 v42, v66, v68
	;; [unrolled: 1-line block ×3, first 2 shown]
	v_pk_add_f16 v77, v68, v74 neg_lo:[0,1] neg_hi:[0,1]
	v_pk_add_f16 v78, v70, v72 neg_lo:[0,1] neg_hi:[0,1]
	v_pk_add_f16 v82, v68, v74
	v_pk_add_f16 v79, v68, v70 neg_lo:[0,1] neg_hi:[0,1]
	v_pk_add_f16 v80, v74, v72 neg_lo:[0,1] neg_hi:[0,1]
	v_pk_add_f16 v84, v71, v73
	v_pk_add_f16 v85, v69, v75 neg_lo:[0,1] neg_hi:[0,1]
	v_pk_add_f16 v68, v70, v68 neg_lo:[0,1] neg_hi:[0,1]
	;; [unrolled: 1-line block ×4, first 2 shown]
	v_pk_add_f16 v89, v69, v75
	v_pk_add_f16 v87, v69, v71 neg_lo:[0,1] neg_hi:[0,1]
	v_pk_add_f16 v69, v71, v69 neg_lo:[0,1] neg_hi:[0,1]
	v_pk_add_f16 v40, v40, v71
	v_pk_add_f16 v42, v42, v70
	v_pk_fma_f16 v70, v76, 0.5, v66 op_sel_hi:[1,0,1] neg_lo:[1,0,0] neg_hi:[1,0,0]
	v_pk_mul_f16 v71, 0x3b9c, v77 op_sel_hi:[0,1]
	v_pk_mul_f16 v76, 0x38b4, v78 op_sel_hi:[0,1]
	v_pk_fma_f16 v66, v82, 0.5, v66 op_sel_hi:[1,0,1] neg_lo:[1,0,0] neg_hi:[1,0,0]
	v_pk_mul_f16 v78, 0x3b9c, v78 op_sel_hi:[0,1]
	v_pk_add_f16 v79, v79, v80
	v_pk_fma_f16 v80, v84, 0.5, v67 op_sel_hi:[1,0,1] neg_lo:[1,0,0] neg_hi:[1,0,0]
	v_pk_mul_f16 v82, 0x3b9c, v85 op_sel_hi:[0,1]
	v_pk_add_f16 v68, v68, v83
	v_pk_mul_f16 v83, 0x38b4, v86 op_sel_hi:[0,1]
	v_pk_fma_f16 v67, v89, 0.5, v67 op_sel_hi:[1,0,1] neg_lo:[1,0,0] neg_hi:[1,0,0]
	v_pk_mul_f16 v86, 0x3b9c, v86 op_sel_hi:[0,1]
	v_pk_add_f16 v42, v42, v72
	v_pk_add_f16 v72, v70, v71 op_sel:[0,1] op_sel_hi:[1,0] neg_lo:[0,1] neg_hi:[0,1]
	v_pk_add_f16 v70, v70, v71 op_sel:[0,1] op_sel_hi:[1,0]
	v_pk_mul_f16 v77, 0x38b4, v77 op_sel_hi:[0,1]
	v_pk_add_f16 v71, v66, v78 op_sel:[0,1] op_sel_hi:[1,0]
	v_pk_add_f16 v66, v66, v78 op_sel:[0,1] op_sel_hi:[1,0] neg_lo:[0,1] neg_hi:[0,1]
	v_pk_add_f16 v88, v75, v73 neg_lo:[0,1] neg_hi:[0,1]
	v_pk_add_f16 v90, v73, v75 neg_lo:[0,1] neg_hi:[0,1]
	v_pk_add_f16 v40, v40, v73
	v_pk_add_f16 v73, v80, v82 op_sel:[0,1] op_sel_hi:[1,0] neg_lo:[0,1] neg_hi:[0,1]
	v_pk_add_f16 v78, v80, v82 op_sel:[0,1] op_sel_hi:[1,0]
	v_pk_mul_f16 v85, 0x38b4, v85 op_sel_hi:[0,1]
	v_pk_add_f16 v80, v67, v86 op_sel:[0,1] op_sel_hi:[1,0]
	v_pk_add_f16 v67, v67, v86 op_sel:[0,1] op_sel_hi:[1,0] neg_lo:[0,1] neg_hi:[0,1]
	v_pk_add_f16 v72, v72, v76 op_sel:[0,1] op_sel_hi:[1,0] neg_lo:[0,1] neg_hi:[0,1]
	v_pk_add_f16 v70, v70, v76 op_sel:[0,1] op_sel_hi:[1,0]
	v_pk_add_f16 v71, v71, v77 op_sel:[0,1] op_sel_hi:[1,0] neg_lo:[0,1] neg_hi:[0,1]
	v_pk_add_f16 v66, v66, v77 op_sel:[0,1] op_sel_hi:[1,0]
	v_pk_add_f16 v42, v42, v74
	v_pk_add_f16 v73, v73, v83 op_sel:[0,1] op_sel_hi:[1,0] neg_lo:[0,1] neg_hi:[0,1]
	v_pk_add_f16 v74, v78, v83 op_sel:[0,1] op_sel_hi:[1,0]
	v_pk_add_f16 v40, v40, v75
	v_pk_add_f16 v75, v80, v85 op_sel:[0,1] op_sel_hi:[1,0] neg_lo:[0,1] neg_hi:[0,1]
	v_pk_add_f16 v67, v67, v85 op_sel:[0,1] op_sel_hi:[1,0]
	v_bfi_b32 v76, 0xffff, v72, v70
	v_bfi_b32 v77, 0xffff, v71, v66
	;; [unrolled: 1-line block ×4, first 2 shown]
	v_pk_add_f16 v84, v87, v88
	v_bfi_b32 v71, 0xffff, v73, v74
	v_pk_add_f16 v69, v69, v90
	v_bfi_b32 v72, 0xffff, v75, v67
	v_bfi_b32 v67, 0xffff, v67, v75
	;; [unrolled: 1-line block ×3, first 2 shown]
	v_pk_fma_f16 v74, 0x34f2, v79, v76 op_sel_hi:[0,1,1]
	v_pk_fma_f16 v75, 0x34f2, v68, v77 op_sel_hi:[0,1,1]
	;; [unrolled: 1-line block ×8, first 2 shown]
	ds_write2_b32 v57, v42, v74 offset1:1
	ds_write2_b32 v57, v75, v66 offset0:2 offset1:3
	ds_write_b32 v57, v68 offset:16
	ds_write2_b32 v56, v40, v70 offset1:1
	ds_write2_b32 v56, v71, v67 offset0:2 offset1:3
	ds_write_b32 v56, v69 offset:16
	s_waitcnt lgkmcnt(0)
	s_barrier
	buffer_gl0_inv
	ds_read2_b32 v[56:57], v49 offset1:135
	ds_read2_b32 v[66:67], v38 offset0:14 offset1:149
	ds_read2_b32 v[68:69], v37 offset0:28 offset1:163
	;; [unrolled: 1-line block ×4, first 2 shown]
	s_waitcnt lgkmcnt(0)
	s_barrier
	buffer_gl0_inv
	v_lshrrev_b32_e32 v72, 16, v57
	v_lshrrev_b32_e32 v73, 16, v66
	v_lshrrev_b32_e32 v74, 16, v67
	v_lshrrev_b32_e32 v75, 16, v68
	v_lshrrev_b32_e32 v76, 16, v69
	v_lshrrev_b32_e32 v77, 16, v70
	v_lshrrev_b32_e32 v78, 16, v71
	v_lshrrev_b32_e32 v79, 16, v40
	v_lshrrev_b32_e32 v80, 16, v41
	v_mul_f16_sdwa v81, v0, v57 dst_sel:DWORD dst_unused:UNUSED_PAD src0_sel:WORD_1 src1_sel:DWORD
	v_mul_f16_sdwa v82, v1, v66 dst_sel:DWORD dst_unused:UNUSED_PAD src0_sel:WORD_1 src1_sel:DWORD
	;; [unrolled: 1-line block ×9, first 2 shown]
	v_lshrrev_b32_e32 v42, 16, v56
	v_mul_f16_sdwa v90, v0, v72 dst_sel:DWORD dst_unused:UNUSED_PAD src0_sel:WORD_1 src1_sel:DWORD
	v_fma_f16 v72, v0, v72, -v81
	v_mul_f16_sdwa v81, v1, v73 dst_sel:DWORD dst_unused:UNUSED_PAD src0_sel:WORD_1 src1_sel:DWORD
	v_fma_f16 v73, v1, v73, -v82
	;; [unrolled: 2-line block ×9, first 2 shown]
	v_fmac_f16_e32 v90, v0, v57
	v_fmac_f16_e32 v81, v1, v66
	;; [unrolled: 1-line block ×9, first 2 shown]
	v_add_f16_e32 v2, v42, v73
	v_add_f16_e32 v3, v75, v77
	v_sub_f16_e32 v4, v73, v75
	v_sub_f16_e32 v5, v79, v77
	v_add_f16_e32 v6, v73, v79
	v_sub_f16_e32 v7, v75, v73
	v_sub_f16_e32 v40, v77, v79
	v_add_f16_e32 v57, v72, v74
	v_add_f16_e32 v66, v76, v78
	;; [unrolled: 1-line block ×3, first 2 shown]
	v_sub_f16_e32 v0, v73, v79
	v_sub_f16_e32 v1, v75, v77
	v_sub_f16_e32 v55, v76, v78
	v_sub_f16_e32 v67, v74, v76
	v_sub_f16_e32 v70, v76, v74
	v_add_f16_e32 v73, v56, v81
	v_sub_f16_e32 v89, v81, v83
	v_add_f16_e32 v92, v81, v87
	v_sub_f16_e32 v93, v83, v81
	v_add_f16_e32 v2, v2, v75
	v_fma_f16 v3, -0.5, v3, v42
	v_sub_f16_e32 v75, v81, v87
	v_sub_f16_e32 v81, v83, v85
	v_add_f16_e32 v4, v4, v5
	v_fmac_f16_e32 v42, -0.5, v6
	v_add_f16_e32 v5, v7, v40
	v_add_f16_e32 v7, v84, v86
	;; [unrolled: 1-line block ×3, first 2 shown]
	v_fma_f16 v66, -0.5, v66, v72
	v_sub_f16_e32 v76, v82, v88
	v_add_f16_e32 v6, v90, v82
	v_sub_f16_e32 v40, v82, v84
	v_add_f16_e32 v96, v82, v88
	v_sub_f16_e32 v97, v84, v82
	v_sub_f16_e32 v82, v84, v86
	v_fmac_f16_e32 v72, -0.5, v69
	v_sub_f16_e32 v41, v74, v80
	v_sub_f16_e32 v68, v80, v78
	v_sub_f16_e32 v71, v78, v80
	v_add_f16_e32 v74, v83, v85
	v_add_f16_e32 v2, v2, v77
	v_fmamk_f16 v77, v81, 0xbb9c, v42
	v_fmac_f16_e32 v42, 0x3b9c, v81
	v_fma_f16 v7, -0.5, v7, v90
	v_add_f16_e32 v57, v57, v78
	v_fmamk_f16 v78, v76, 0x3b9c, v66
	v_add_f16_e32 v6, v6, v84
	v_fmac_f16_e32 v90, -0.5, v96
	v_fmamk_f16 v84, v82, 0xbb9c, v72
	v_fmac_f16_e32 v72, 0x3b9c, v82
	v_fmac_f16_e32 v66, 0xbb9c, v76
	v_sub_f16_e32 v91, v87, v85
	v_sub_f16_e32 v95, v88, v86
	v_add_f16_e32 v67, v67, v68
	v_add_f16_e32 v68, v70, v71
	;; [unrolled: 1-line block ×3, first 2 shown]
	v_fma_f16 v70, -0.5, v74, v56
	v_fmac_f16_e32 v56, -0.5, v92
	v_fmamk_f16 v74, v75, 0x3b9c, v3
	v_fmac_f16_e32 v3, 0xbb9c, v75
	v_fmac_f16_e32 v77, 0x38b4, v75
	;; [unrolled: 1-line block ×3, first 2 shown]
	v_fmamk_f16 v75, v41, 0xbb9c, v7
	v_fmac_f16_e32 v78, 0x38b4, v82
	v_sub_f16_e32 v98, v86, v88
	v_add_f16_e32 v2, v2, v79
	v_fmac_f16_e32 v7, 0x3b9c, v41
	v_fmamk_f16 v79, v55, 0x3b9c, v90
	v_fmac_f16_e32 v90, 0xbb9c, v55
	v_fmac_f16_e32 v84, 0x38b4, v76
	;; [unrolled: 1-line block ×4, first 2 shown]
	v_sub_f16_e32 v94, v85, v87
	v_add_f16_e32 v71, v89, v91
	v_add_f16_e32 v40, v40, v95
	;; [unrolled: 1-line block ×3, first 2 shown]
	v_fmamk_f16 v85, v0, 0xbb9c, v70
	v_fmamk_f16 v89, v1, 0x3b9c, v56
	v_fmac_f16_e32 v56, 0xbb9c, v1
	v_add_f16_e32 v6, v6, v86
	v_fmac_f16_e32 v75, 0xb8b4, v55
	v_fmac_f16_e32 v78, 0x34f2, v67
	v_add_f16_e32 v83, v97, v98
	v_fmac_f16_e32 v70, 0x3b9c, v0
	v_add_f16_e32 v57, v57, v80
	v_fmac_f16_e32 v7, 0x38b4, v55
	v_fmac_f16_e32 v79, 0xb8b4, v41
	;; [unrolled: 1-line block ×8, first 2 shown]
	v_add_f16_e32 v69, v69, v87
	v_fmac_f16_e32 v85, 0xb8b4, v1
	v_fmac_f16_e32 v89, 0xb8b4, v0
	;; [unrolled: 1-line block ×5, first 2 shown]
	v_add_f16_e32 v0, v6, v88
	v_fmac_f16_e32 v75, 0x34f2, v40
	v_mul_f16_e32 v5, 0xb8b4, v78
	v_mul_f16_e32 v55, 0x3a79, v78
	v_add_f16_e32 v73, v93, v94
	v_fmac_f16_e32 v70, 0x38b4, v1
	v_add_f16_e32 v1, v2, v57
	v_sub_f16_e32 v2, v2, v57
	v_fmac_f16_e32 v7, 0x34f2, v40
	v_fmac_f16_e32 v79, 0x34f2, v83
	;; [unrolled: 1-line block ×3, first 2 shown]
	v_mul_f16_e32 v6, 0xbb9c, v84
	v_mul_f16_e32 v40, 0xbb9c, v72
	;; [unrolled: 1-line block ×6, first 2 shown]
	v_fmac_f16_e32 v74, 0x34f2, v4
	v_fmac_f16_e32 v3, 0x34f2, v4
	;; [unrolled: 1-line block ×3, first 2 shown]
	v_add_f16_e32 v4, v69, v0
	v_sub_f16_e32 v0, v69, v0
	v_fmac_f16_e32 v5, 0x3a79, v75
	v_fmac_f16_e32 v55, 0x38b4, v75
	;; [unrolled: 1-line block ×11, first 2 shown]
	v_pack_b32_f16 v0, v0, v2
	v_add_f16_e32 v2, v85, v5
	v_add_f16_e32 v69, v74, v55
	v_pack_b32_f16 v1, v4, v1
	v_add_f16_e32 v4, v89, v6
	v_add_f16_e32 v7, v56, v40
	;; [unrolled: 1-line block ×6, first 2 shown]
	v_sub_f16_e32 v5, v85, v5
	v_sub_f16_e32 v6, v89, v6
	;; [unrolled: 1-line block ×8, first 2 shown]
	v_pack_b32_f16 v2, v2, v69
	v_pack_b32_f16 v3, v4, v71
	;; [unrolled: 1-line block ×8, first 2 shown]
	ds_write2_b32 v58, v1, v2 offset1:5
	ds_write2_b32 v58, v3, v4 offset0:10 offset1:15
	ds_write2_b32 v58, v7, v0 offset0:20 offset1:25
	;; [unrolled: 1-line block ×4, first 2 shown]
	s_waitcnt lgkmcnt(0)
	s_barrier
	buffer_gl0_inv
	ds_read2_b32 v[2:3], v49 offset1:135
	ds_read2_b32 v[0:1], v38 offset0:14 offset1:194
	ds_read2_b32 v[6:7], v39 offset0:4 offset1:139
	;; [unrolled: 1-line block ×3, first 2 shown]
	ds_read_b32 v37, v49 offset:4680
	s_and_saveexec_b32 s0, vcc_lo
	s_cbranch_execz .LBB0_15
; %bb.14:
	ds_read_b32 v40, v49 offset:1620
	ds_read_b32 v33, v49 offset:3420
	ds_read_b32 v34, v49 offset:5220
	s_waitcnt lgkmcnt(2)
	v_lshrrev_b32_e32 v41, 16, v40
	s_waitcnt lgkmcnt(1)
	v_lshrrev_b32_e32 v36, 16, v33
	;; [unrolled: 2-line block ×3, first 2 shown]
.LBB0_15:
	s_or_b32 exec_lo, exec_lo, s0
	s_waitcnt lgkmcnt(3)
	v_lshrrev_b32_e32 v39, 16, v1
	s_waitcnt lgkmcnt(2)
	v_lshrrev_b32_e32 v42, 16, v6
	s_waitcnt lgkmcnt(1)
	v_lshrrev_b32_e32 v56, 16, v4
	v_lshrrev_b32_e32 v57, 16, v7
	v_mul_f16_sdwa v68, v15, v1 dst_sel:DWORD dst_unused:UNUSED_PAD src0_sel:WORD_1 src1_sel:DWORD
	v_mul_f16_sdwa v66, v15, v39 dst_sel:DWORD dst_unused:UNUSED_PAD src0_sel:WORD_1 src1_sel:DWORD
	;; [unrolled: 1-line block ×3, first 2 shown]
	v_lshrrev_b32_e32 v67, 16, v5
	s_waitcnt lgkmcnt(0)
	v_lshrrev_b32_e32 v69, 16, v37
	v_lshrrev_b32_e32 v38, 16, v2
	v_fmac_f16_e32 v66, v15, v1
	v_mul_f16_sdwa v1, v16, v6 dst_sel:DWORD dst_unused:UNUSED_PAD src0_sel:WORD_1 src1_sel:DWORD
	v_fma_f16 v15, v15, v39, -v68
	v_mul_f16_sdwa v39, v13, v56 dst_sel:DWORD dst_unused:UNUSED_PAD src0_sel:WORD_1 src1_sel:DWORD
	v_fmac_f16_e32 v70, v16, v6
	v_mul_f16_sdwa v6, v13, v4 dst_sel:DWORD dst_unused:UNUSED_PAD src0_sel:WORD_1 src1_sel:DWORD
	v_fma_f16 v1, v16, v42, -v1
	v_mul_f16_sdwa v16, v14, v57 dst_sel:DWORD dst_unused:UNUSED_PAD src0_sel:WORD_1 src1_sel:DWORD
	;; [unrolled: 4-line block ×6, first 2 shown]
	v_fmac_f16_e32 v11, v9, v33
	v_mul_f16_sdwa v33, v10, v34 dst_sel:DWORD dst_unused:UNUSED_PAD src0_sel:WORD_1 src1_sel:DWORD
	v_fma_f16 v9, v9, v36, -v37
	v_add_f16_e32 v36, v66, v70
	v_fmac_f16_e32 v12, v10, v34
	v_lshrrev_b32_e32 v55, 16, v3
	v_fma_f16 v10, v10, v35, -v33
	v_add_f16_e32 v33, v15, v1
	v_sub_f16_e32 v35, v15, v1
	v_add_f16_e32 v15, v38, v15
	v_add_f16_e32 v34, v2, v66
	v_fma_f16 v2, -0.5, v36, v2
	v_fmac_f16_e32 v38, -0.5, v33
	v_sub_f16_e32 v33, v66, v70
	v_add_f16_e32 v1, v15, v1
	v_add_f16_e32 v15, v39, v16
	v_fmamk_f16 v36, v35, 0xbaee, v2
	v_fmac_f16_e32 v2, 0x3aee, v35
	v_fmamk_f16 v35, v33, 0x3aee, v38
	v_add_f16_e32 v37, v3, v39
	v_fmac_f16_e32 v38, 0xbaee, v33
	v_add_f16_e32 v33, v6, v4
	v_fmac_f16_e32 v3, -0.5, v15
	v_sub_f16_e32 v15, v6, v4
	v_add_f16_e32 v6, v55, v6
	v_add_f16_e32 v37, v37, v16
	v_fmac_f16_e32 v55, -0.5, v33
	v_sub_f16_e32 v16, v39, v16
	v_lshrrev_b32_e32 v58, 16, v0
	v_add_f16_e32 v4, v6, v4
	v_add_f16_e32 v6, v13, v14
	v_fmamk_f16 v33, v15, 0xbaee, v3
	v_fmac_f16_e32 v3, 0x3aee, v15
	v_fmamk_f16 v15, v16, 0x3aee, v55
	v_add_f16_e32 v39, v0, v13
	v_fmac_f16_e32 v55, 0xbaee, v16
	v_add_f16_e32 v16, v7, v5
	v_fmac_f16_e32 v0, -0.5, v6
	v_sub_f16_e32 v6, v7, v5
	v_add_f16_e32 v39, v39, v14
	v_add_f16_e32 v7, v58, v7
	v_fmac_f16_e32 v58, -0.5, v16
	v_sub_f16_e32 v13, v13, v14
	v_fmamk_f16 v14, v6, 0xbaee, v0
	v_fmac_f16_e32 v0, 0x3aee, v6
	v_add_f16_e32 v6, v11, v12
	v_add_f16_e32 v34, v34, v70
	;; [unrolled: 1-line block ×3, first 2 shown]
	v_fmamk_f16 v7, v13, 0x3aee, v58
	v_fmac_f16_e32 v58, 0xbaee, v13
	v_add_f16_e32 v13, v9, v10
	v_add_f16_e32 v16, v40, v11
	v_fmac_f16_e32 v40, -0.5, v6
	v_sub_f16_e32 v6, v9, v10
	v_add_f16_e32 v42, v41, v9
	v_fmac_f16_e32 v41, -0.5, v13
	v_sub_f16_e32 v13, v11, v12
	v_pack_b32_f16 v1, v34, v1
	v_fmamk_f16 v11, v6, 0xbaee, v40
	v_fmac_f16_e32 v40, 0x3aee, v6
	v_pack_b32_f16 v6, v36, v35
	v_add_f16_e32 v9, v16, v12
	v_add_f16_e32 v10, v42, v10
	v_fmamk_f16 v12, v13, 0x3aee, v41
	v_fmac_f16_e32 v41, 0xbaee, v13
	s_barrier
	buffer_gl0_inv
	ds_write2_b32 v63, v1, v6 offset1:50
	v_pack_b32_f16 v1, v2, v38
	v_pack_b32_f16 v2, v37, v4
	;; [unrolled: 1-line block ×7, first 2 shown]
	ds_write_b32 v63, v1 offset:400
	ds_write2_b32 v62, v2, v4 offset1:50
	ds_write_b32 v62, v3 offset:400
	ds_write2_b32 v61, v5, v6 offset1:50
	ds_write_b32 v61, v0 offset:400
	s_and_saveexec_b32 s0, vcc_lo
	s_cbranch_execz .LBB0_17
; %bb.16:
	v_mov_b32_e32 v0, 2
	v_perm_b32 v1, v10, v9, 0x5040100
	v_perm_b32 v2, v12, v11, 0x5040100
	;; [unrolled: 1-line block ×3, first 2 shown]
	v_lshlrev_b32_sdwa v0, v0, v59 dst_sel:DWORD dst_unused:UNUSED_PAD src0_sel:DWORD src1_sel:WORD_0
	v_add_nc_u32_e32 v3, 0x1000, v0
	ds_write2_b32 v3, v1, v2 offset0:176 offset1:226
	ds_write_b32 v0, v4 offset:5200
.LBB0_17:
	s_or_b32 exec_lo, exec_lo, s0
	v_add_nc_u32_e32 v0, 0x400, v49
	v_add_nc_u32_e32 v4, 0xe00, v49
	;; [unrolled: 1-line block ×3, first 2 shown]
	s_waitcnt lgkmcnt(0)
	s_barrier
	buffer_gl0_inv
	ds_read2_b32 v[2:3], v49 offset1:135
	ds_read2_b32 v[0:1], v0 offset0:14 offset1:194
	ds_read2_b32 v[6:7], v4 offset0:4 offset1:139
	;; [unrolled: 1-line block ×3, first 2 shown]
	ds_read_b32 v13, v49 offset:4680
	s_and_saveexec_b32 s0, vcc_lo
	s_cbranch_execz .LBB0_19
; %bb.18:
	ds_read_b32 v9, v49 offset:1620
	ds_read_b32 v11, v49 offset:3420
	;; [unrolled: 1-line block ×3, first 2 shown]
	s_waitcnt lgkmcnt(2)
	v_lshrrev_b32_e32 v10, 16, v9
	s_waitcnt lgkmcnt(1)
	v_lshrrev_b32_e32 v12, 16, v11
	;; [unrolled: 2-line block ×3, first 2 shown]
.LBB0_19:
	s_or_b32 exec_lo, exec_lo, s0
	s_waitcnt lgkmcnt(3)
	v_lshrrev_b32_e32 v14, 16, v1
	s_waitcnt lgkmcnt(2)
	v_lshrrev_b32_e32 v16, 16, v6
	;; [unrolled: 2-line block ×3, first 2 shown]
	v_lshrrev_b32_e32 v35, 16, v7
	v_mul_f16_sdwa v39, v19, v1 dst_sel:DWORD dst_unused:UNUSED_PAD src0_sel:WORD_1 src1_sel:DWORD
	v_mul_f16_sdwa v37, v19, v14 dst_sel:DWORD dst_unused:UNUSED_PAD src0_sel:WORD_1 src1_sel:DWORD
	;; [unrolled: 1-line block ×3, first 2 shown]
	v_lshrrev_b32_e32 v38, 16, v5
	s_waitcnt lgkmcnt(0)
	v_lshrrev_b32_e32 v42, 16, v13
	v_fma_f16 v14, v19, v14, -v39
	v_fmac_f16_e32 v37, v19, v1
	v_mul_f16_sdwa v1, v20, v6 dst_sel:DWORD dst_unused:UNUSED_PAD src0_sel:WORD_1 src1_sel:DWORD
	v_mul_f16_sdwa v19, v25, v34 dst_sel:DWORD dst_unused:UNUSED_PAD src0_sel:WORD_1 src1_sel:DWORD
	v_fmac_f16_e32 v55, v20, v6
	v_mul_f16_sdwa v6, v25, v4 dst_sel:DWORD dst_unused:UNUSED_PAD src0_sel:WORD_1 src1_sel:DWORD
	v_lshrrev_b32_e32 v15, 16, v2
	v_fma_f16 v1, v20, v16, -v1
	v_mul_f16_sdwa v16, v26, v35 dst_sel:DWORD dst_unused:UNUSED_PAD src0_sel:WORD_1 src1_sel:DWORD
	v_fmac_f16_e32 v19, v25, v4
	v_mul_f16_sdwa v4, v26, v7 dst_sel:DWORD dst_unused:UNUSED_PAD src0_sel:WORD_1 src1_sel:DWORD
	v_fma_f16 v6, v25, v34, -v6
	v_mul_f16_sdwa v20, v23, v38 dst_sel:DWORD dst_unused:UNUSED_PAD src0_sel:WORD_1 src1_sel:DWORD
	v_fmac_f16_e32 v16, v26, v7
	v_mul_f16_sdwa v7, v23, v5 dst_sel:DWORD dst_unused:UNUSED_PAD src0_sel:WORD_1 src1_sel:DWORD
	v_mul_f16_sdwa v25, v24, v42 dst_sel:DWORD dst_unused:UNUSED_PAD src0_sel:WORD_1 src1_sel:DWORD
	v_lshrrev_b32_e32 v33, 16, v3
	v_fmac_f16_e32 v20, v23, v5
	v_mul_f16_sdwa v5, v24, v13 dst_sel:DWORD dst_unused:UNUSED_PAD src0_sel:WORD_1 src1_sel:DWORD
	v_fma_f16 v7, v23, v38, -v7
	v_mul_f16_sdwa v23, v21, v12 dst_sel:DWORD dst_unused:UNUSED_PAD src0_sel:WORD_1 src1_sel:DWORD
	v_fmac_f16_e32 v25, v24, v13
	v_mul_f16_sdwa v13, v21, v11 dst_sel:DWORD dst_unused:UNUSED_PAD src0_sel:WORD_1 src1_sel:DWORD
	v_fma_f16 v5, v24, v42, -v5
	v_mul_f16_sdwa v24, v22, v41 dst_sel:DWORD dst_unused:UNUSED_PAD src0_sel:WORD_1 src1_sel:DWORD
	v_fmac_f16_e32 v23, v21, v11
	v_mul_f16_sdwa v11, v22, v40 dst_sel:DWORD dst_unused:UNUSED_PAD src0_sel:WORD_1 src1_sel:DWORD
	v_fma_f16 v12, v21, v12, -v13
	v_add_f16_e32 v13, v37, v55
	v_fmac_f16_e32 v24, v22, v40
	v_add_f16_e32 v21, v2, v37
	v_fma_f16 v22, v22, v41, -v11
	v_add_f16_e32 v11, v14, v1
	v_fma_f16 v2, -0.5, v13, v2
	v_sub_f16_e32 v13, v14, v1
	v_fma_f16 v4, v26, v35, -v4
	v_add_f16_e32 v14, v15, v14
	v_fmac_f16_e32 v15, -0.5, v11
	v_sub_f16_e32 v11, v37, v55
	v_fmamk_f16 v26, v13, 0xbaee, v2
	v_fmac_f16_e32 v2, 0x3aee, v13
	v_add_f16_e32 v13, v19, v16
	v_add_f16_e32 v1, v14, v1
	v_fmamk_f16 v34, v11, 0x3aee, v15
	v_add_f16_e32 v14, v3, v19
	v_fmac_f16_e32 v15, 0xbaee, v11
	v_add_f16_e32 v11, v6, v4
	v_fmac_f16_e32 v3, -0.5, v13
	v_sub_f16_e32 v13, v6, v4
	v_add_f16_e32 v6, v33, v6
	v_lshrrev_b32_e32 v36, 16, v0
	v_fmac_f16_e32 v33, -0.5, v11
	v_sub_f16_e32 v11, v19, v16
	v_add_f16_e32 v35, v14, v16
	v_add_f16_e32 v4, v6, v4
	;; [unrolled: 1-line block ×3, first 2 shown]
	v_fmamk_f16 v16, v13, 0xbaee, v3
	v_fmac_f16_e32 v3, 0x3aee, v13
	v_fmamk_f16 v19, v11, 0x3aee, v33
	v_add_f16_e32 v13, v0, v20
	v_fmac_f16_e32 v33, 0xbaee, v11
	v_add_f16_e32 v11, v7, v5
	v_fmac_f16_e32 v0, -0.5, v6
	v_sub_f16_e32 v6, v7, v5
	v_add_f16_e32 v7, v36, v7
	v_add_f16_e32 v21, v21, v55
	v_fmac_f16_e32 v36, -0.5, v11
	v_sub_f16_e32 v11, v20, v25
	v_fmamk_f16 v20, v6, 0xbaee, v0
	v_fmac_f16_e32 v0, 0x3aee, v6
	v_add_f16_e32 v6, v23, v24
	v_add_f16_e32 v37, v13, v25
	v_add_f16_e32 v5, v7, v5
	v_fmamk_f16 v7, v11, 0x3aee, v36
	v_fmac_f16_e32 v36, 0xbaee, v11
	v_add_f16_e32 v11, v12, v22
	v_add_f16_e32 v13, v9, v23
	v_fmac_f16_e32 v9, -0.5, v6
	v_sub_f16_e32 v6, v12, v22
	v_add_f16_e32 v12, v10, v12
	v_fmac_f16_e32 v10, -0.5, v11
	v_sub_f16_e32 v23, v23, v24
	v_add_f16_e32 v11, v13, v24
	v_fmamk_f16 v13, v6, 0xbaee, v9
	v_fmac_f16_e32 v9, 0x3aee, v6
	v_pack_b32_f16 v1, v21, v1
	v_pack_b32_f16 v6, v26, v34
	v_add_f16_e32 v12, v12, v22
	v_fmamk_f16 v14, v23, 0x3aee, v10
	v_fmac_f16_e32 v10, 0xbaee, v23
	s_barrier
	buffer_gl0_inv
	ds_write2_b32 v49, v1, v6 offset1:150
	v_pack_b32_f16 v1, v2, v15
	v_pack_b32_f16 v2, v35, v4
	;; [unrolled: 1-line block ×7, first 2 shown]
	ds_write_b32 v49, v1 offset:1200
	ds_write2_b32 v65, v2, v4 offset1:150
	ds_write_b32 v65, v3 offset:1200
	ds_write2_b32 v64, v5, v6 offset1:150
	ds_write_b32 v64, v0 offset:1200
	s_and_saveexec_b32 s0, vcc_lo
	s_cbranch_execz .LBB0_21
; %bb.20:
	v_mov_b32_e32 v0, 2
	v_perm_b32 v1, v12, v11, 0x5040100
	v_perm_b32 v2, v14, v13, 0x5040100
	;; [unrolled: 1-line block ×3, first 2 shown]
	v_lshlrev_b32_sdwa v0, v0, v60 dst_sel:DWORD dst_unused:UNUSED_PAD src0_sel:DWORD src1_sel:WORD_0
	v_add_nc_u32_e32 v3, 0xe00, v0
	ds_write2_b32 v3, v1, v2 offset0:4 offset1:154
	ds_write_b32 v0, v4 offset:4800
.LBB0_21:
	s_or_b32 exec_lo, exec_lo, s0
	v_add_nc_u32_e32 v0, 0x400, v49
	v_add_nc_u32_e32 v4, 0xe00, v49
	;; [unrolled: 1-line block ×3, first 2 shown]
	s_waitcnt lgkmcnt(0)
	s_barrier
	buffer_gl0_inv
	ds_read2_b32 v[2:3], v49 offset1:135
	ds_read2_b32 v[0:1], v0 offset0:14 offset1:194
	ds_read2_b32 v[6:7], v4 offset0:4 offset1:139
	;; [unrolled: 1-line block ×3, first 2 shown]
	ds_read_b32 v16, v49 offset:4680
	s_and_saveexec_b32 s0, vcc_lo
	s_cbranch_execz .LBB0_23
; %bb.22:
	ds_read_b32 v11, v49 offset:1620
	ds_read_b32 v13, v49 offset:3420
	;; [unrolled: 1-line block ×3, first 2 shown]
	s_waitcnt lgkmcnt(2)
	v_lshrrev_b32_e32 v12, 16, v11
	s_waitcnt lgkmcnt(1)
	v_lshrrev_b32_e32 v14, 16, v13
	;; [unrolled: 2-line block ×3, first 2 shown]
.LBB0_23:
	s_or_b32 exec_lo, exec_lo, s0
	s_waitcnt lgkmcnt(3)
	v_lshrrev_b32_e32 v20, 16, v1
	s_waitcnt lgkmcnt(2)
	v_lshrrev_b32_e32 v21, 16, v6
	;; [unrolled: 2-line block ×3, first 2 shown]
	v_mul_f16_sdwa v34, v29, v1 dst_sel:DWORD dst_unused:UNUSED_PAD src0_sel:WORD_1 src1_sel:DWORD
	v_lshrrev_b32_e32 v24, 16, v7
	v_mul_f16_sdwa v26, v29, v20 dst_sel:DWORD dst_unused:UNUSED_PAD src0_sel:WORD_1 src1_sel:DWORD
	v_mul_f16_sdwa v36, v30, v21 dst_sel:DWORD dst_unused:UNUSED_PAD src0_sel:WORD_1 src1_sel:DWORD
	v_lshrrev_b32_e32 v33, 16, v5
	v_fma_f16 v20, v29, v20, -v34
	s_waitcnt lgkmcnt(0)
	v_lshrrev_b32_e32 v35, 16, v16
	v_fmac_f16_e32 v26, v29, v1
	v_mul_f16_sdwa v29, v27, v23 dst_sel:DWORD dst_unused:UNUSED_PAD src0_sel:WORD_1 src1_sel:DWORD
	v_mul_f16_sdwa v1, v30, v6 dst_sel:DWORD dst_unused:UNUSED_PAD src0_sel:WORD_1 src1_sel:DWORD
	v_fmac_f16_e32 v36, v30, v6
	v_mul_f16_sdwa v6, v27, v4 dst_sel:DWORD dst_unused:UNUSED_PAD src0_sel:WORD_1 src1_sel:DWORD
	v_lshrrev_b32_e32 v19, 16, v2
	v_fmac_f16_e32 v29, v27, v4
	v_mul_f16_sdwa v4, v28, v7 dst_sel:DWORD dst_unused:UNUSED_PAD src0_sel:WORD_1 src1_sel:DWORD
	v_fma_f16 v1, v30, v21, -v1
	v_mul_f16_sdwa v21, v28, v24 dst_sel:DWORD dst_unused:UNUSED_PAD src0_sel:WORD_1 src1_sel:DWORD
	v_fma_f16 v6, v27, v23, -v6
	;; [unrolled: 2-line block ×3, first 2 shown]
	v_mul_f16_sdwa v24, v32, v35 dst_sel:DWORD dst_unused:UNUSED_PAD src0_sel:WORD_1 src1_sel:DWORD
	v_add_f16_e32 v27, v26, v36
	v_fmac_f16_e32 v21, v28, v7
	v_add_f16_e32 v28, v20, v1
	v_mul_f16_sdwa v7, v31, v5 dst_sel:DWORD dst_unused:UNUSED_PAD src0_sel:WORD_1 src1_sel:DWORD
	v_fmac_f16_e32 v23, v31, v5
	v_mul_f16_sdwa v5, v32, v16 dst_sel:DWORD dst_unused:UNUSED_PAD src0_sel:WORD_1 src1_sel:DWORD
	v_fmac_f16_e32 v24, v32, v16
	v_add_f16_e32 v16, v2, v26
	v_fma_f16 v2, -0.5, v27, v2
	v_sub_f16_e32 v27, v20, v1
	v_add_f16_e32 v20, v19, v20
	v_fmac_f16_e32 v19, -0.5, v28
	v_sub_f16_e32 v26, v26, v36
	v_lshrrev_b32_e32 v22, 16, v3
	v_fmamk_f16 v28, v27, 0xbaee, v2
	v_add_f16_e32 v1, v20, v1
	v_add_f16_e32 v20, v29, v21
	v_fmac_f16_e32 v2, 0x3aee, v27
	v_fmamk_f16 v27, v26, 0x3aee, v19
	v_add_f16_e32 v30, v3, v29
	v_fmac_f16_e32 v19, 0xbaee, v26
	v_add_f16_e32 v26, v6, v4
	v_fmac_f16_e32 v3, -0.5, v20
	v_sub_f16_e32 v20, v6, v4
	v_add_f16_e32 v6, v22, v6
	v_fma_f16 v7, v31, v33, -v7
	v_fma_f16 v5, v32, v35, -v5
	v_add_f16_e32 v30, v30, v21
	v_fmac_f16_e32 v22, -0.5, v26
	v_sub_f16_e32 v21, v29, v21
	v_lshrrev_b32_e32 v25, 16, v0
	v_add_f16_e32 v4, v6, v4
	v_add_f16_e32 v6, v23, v24
	v_fmamk_f16 v26, v20, 0xbaee, v3
	v_fmac_f16_e32 v3, 0x3aee, v20
	v_fmamk_f16 v20, v21, 0x3aee, v22
	v_fmac_f16_e32 v22, 0xbaee, v21
	v_add_f16_e32 v21, v7, v5
	v_add_f16_e32 v29, v0, v23
	v_fmac_f16_e32 v0, -0.5, v6
	v_sub_f16_e32 v6, v7, v5
	v_add_f16_e32 v7, v25, v7
	v_fmac_f16_e32 v25, -0.5, v21
	v_sub_f16_e32 v21, v23, v24
	v_add_f16_e32 v16, v16, v36
	v_add_f16_e32 v29, v29, v24
	v_add_f16_e32 v5, v7, v5
	v_fmamk_f16 v23, v6, 0xbaee, v0
	v_fmac_f16_e32 v0, 0x3aee, v6
	v_pack_b32_f16 v6, v28, v27
	v_fmamk_f16 v7, v21, 0x3aee, v25
	v_fmac_f16_e32 v25, 0xbaee, v21
	v_pack_b32_f16 v1, v16, v1
	v_pack_b32_f16 v2, v2, v19
	;; [unrolled: 1-line block ×3, first 2 shown]
	v_add_nc_u32_e32 v5, 0x1000, v49
	v_pack_b32_f16 v4, v30, v4
	ds_write_b32 v49, v6 offset:1800
	v_pack_b32_f16 v6, v26, v20
	v_pack_b32_f16 v7, v23, v7
	;; [unrolled: 1-line block ×4, first 2 shown]
	ds_write_b32 v49, v2 offset:3600
	ds_write2_b32 v49, v1, v4 offset1:135
	ds_write_b32 v49, v16 offset:1080
	ds_write2_b32 v15, v6, v7 offset0:73 offset1:208
	ds_write2_b32 v5, v3, v0 offset0:11 offset1:146
	s_and_saveexec_b32 s0, vcc_lo
	s_cbranch_execz .LBB0_25
; %bb.24:
	v_mul_f16_sdwa v0, v17, v13 dst_sel:DWORD dst_unused:UNUSED_PAD src0_sel:WORD_1 src1_sel:DWORD
	v_mul_f16_sdwa v1, v18, v9 dst_sel:DWORD dst_unused:UNUSED_PAD src0_sel:WORD_1 src1_sel:DWORD
	;; [unrolled: 1-line block ×4, first 2 shown]
	v_fma_f16 v0, v17, v14, -v0
	v_fma_f16 v1, v18, v10, -v1
	v_fmac_f16_e32 v2, v17, v13
	v_fmac_f16_e32 v3, v18, v9
	v_add_f16_e32 v9, v12, v0
	v_add_f16_e32 v4, v0, v1
	v_sub_f16_e32 v0, v0, v1
	v_add_f16_e32 v7, v2, v3
	v_sub_f16_e32 v6, v2, v3
	v_add_f16_e32 v2, v11, v2
	v_fma_f16 v4, -0.5, v4, v12
	v_add_f16_e32 v1, v9, v1
	v_fma_f16 v7, -0.5, v7, v11
	v_add_f16_e32 v2, v2, v3
	v_fmamk_f16 v3, v6, 0xbaee, v4
	v_fmac_f16_e32 v4, 0x3aee, v6
	v_fmamk_f16 v6, v0, 0x3aee, v7
	v_fmac_f16_e32 v7, 0xbaee, v0
	v_pack_b32_f16 v0, v2, v1
	v_pack_b32_f16 v2, v6, v3
	;; [unrolled: 1-line block ×3, first 2 shown]
	ds_write_b32 v49, v0 offset:1620
	ds_write_b32 v49, v1 offset:3420
	;; [unrolled: 1-line block ×3, first 2 shown]
.LBB0_25:
	s_or_b32 exec_lo, exec_lo, s0
	s_waitcnt lgkmcnt(0)
	s_barrier
	buffer_gl0_inv
	ds_read2_b32 v[3:4], v49 offset1:135
	v_add_nc_u32_e32 v0, 0x400, v49
	v_add_nc_u32_e32 v1, 0x800, v49
	ds_read2_b32 v[6:7], v0 offset0:14 offset1:149
	ds_read2_b32 v[0:1], v1 offset0:28 offset1:163
	s_mov_b32 s4, 0xa0ce5129
	s_mov_b32 s5, 0x3f4845c8
	s_waitcnt lgkmcnt(2)
	v_lshrrev_b32_e32 v2, 16, v3
	v_mul_f16_sdwa v9, v52, v3 dst_sel:DWORD dst_unused:UNUSED_PAD src0_sel:WORD_1 src1_sel:DWORD
	v_mul_f16_sdwa v10, v52, v2 dst_sel:DWORD dst_unused:UNUSED_PAD src0_sel:WORD_1 src1_sel:DWORD
	v_fma_f16 v2, v52, v2, -v9
	s_waitcnt lgkmcnt(1)
	v_lshrrev_b32_e32 v11, 16, v6
	v_mul_f16_sdwa v12, v53, v6 dst_sel:DWORD dst_unused:UNUSED_PAD src0_sel:WORD_1 src1_sel:DWORD
	s_waitcnt lgkmcnt(0)
	v_lshrrev_b32_e32 v24, 16, v0
	v_fmac_f16_e32 v10, v52, v3
	v_cvt_f32_f16_e32 v2, v2
	v_mul_f16_sdwa v17, v53, v11 dst_sel:DWORD dst_unused:UNUSED_PAD src0_sel:WORD_1 src1_sel:DWORD
	v_fma_f16 v15, v53, v11, -v12
	v_mul_f16_sdwa v18, v54, v24 dst_sel:DWORD dst_unused:UNUSED_PAD src0_sel:WORD_1 src1_sel:DWORD
	v_cvt_f32_f16_e32 v13, v10
	v_cvt_f64_f32_e32 v[2:3], v2
	v_mad_u64_u32 v[9:10], null, s10, v8, 0
	v_cvt_f32_f16_e32 v15, v15
	v_cvt_f64_f32_e32 v[11:12], v13
	v_fmac_f16_e32 v17, v53, v6
	v_mad_u64_u32 v[13:14], null, s8, v51, 0
	v_cvt_f64_f32_e32 v[15:16], v15
	v_fmac_f16_e32 v18, v54, v0
	v_mov_b32_e32 v6, v10
	v_cvt_f32_f16_e32 v19, v17
	v_mul_f16_sdwa v0, v54, v0 dst_sel:DWORD dst_unused:UNUSED_PAD src0_sel:WORD_1 src1_sel:DWORD
	v_cvt_f32_f16_e32 v20, v18
	v_mad_u64_u32 v[17:18], null, s11, v8, v[6:7]
	v_cvt_f64_f32_e32 v[18:19], v19
	v_mov_b32_e32 v10, v14
	v_cvt_f64_f32_e32 v[20:21], v20
	v_fma_f16 v0, v54, v24, -v0
	v_mul_f64 v[2:3], v[2:3], s[4:5]
	v_cvt_f32_f16_e32 v0, v0
	v_mad_u64_u32 v[22:23], null, s9, v51, v[10:11]
	v_mul_f64 v[11:12], v[11:12], s[4:5]
	v_mov_b32_e32 v10, v17
	v_mul_f64 v[15:16], v[15:16], s[4:5]
	v_lshlrev_b64 v[8:9], 2, v[9:10]
	v_mov_b32_e32 v14, v22
	v_add_co_u32 v6, vcc_lo, s2, v8
	v_add_co_ci_u32_e32 v22, vcc_lo, s3, v9, vcc_lo
	v_mul_f64 v[8:9], v[18:19], s[4:5]
	v_and_or_b32 v2, 0x1ff, v3, v2
	v_lshrrev_b32_e32 v10, 8, v3
	v_mul_f64 v[17:18], v[20:21], s[4:5]
	v_bfe_u32 v19, v3, 20, 11
	v_lshlrev_b64 v[13:14], 2, v[13:14]
	v_and_or_b32 v11, 0x1ff, v12, v11
	v_cmp_ne_u32_e32 vcc_lo, 0, v2
	v_and_or_b32 v15, 0x1ff, v16, v15
	v_lshrrev_b32_e32 v20, 8, v12
	v_bfe_u32 v21, v12, 20, 11
	v_sub_nc_u32_e32 v23, 0x3f1, v19
	v_cndmask_b32_e64 v2, 0, 1, vcc_lo
	v_cmp_ne_u32_e32 vcc_lo, 0, v11
	v_add_nc_u32_e32 v19, 0xfffffc10, v19
	v_sub_nc_u32_e32 v26, 0x3f1, v21
	v_lshrrev_b32_e32 v24, 8, v16
	v_and_or_b32 v2, 0xffe, v10, v2
	v_cndmask_b32_e64 v11, 0, 1, vcc_lo
	v_cmp_ne_u32_e32 vcc_lo, 0, v15
	v_med3_i32 v26, v26, 0, 13
	v_med3_i32 v10, v23, 0, 13
	v_and_or_b32 v8, 0x1ff, v9, v8
	v_and_or_b32 v11, 0xffe, v20, v11
	v_cndmask_b32_e64 v15, 0, 1, vcc_lo
	v_cmp_ne_u32_e32 vcc_lo, 0, v2
	v_or_b32_e32 v28, 0x1000, v2
	v_lshl_or_b32 v29, v19, 12, v2
	v_or_b32_e32 v30, 0x1000, v11
	v_lshrrev_b32_e32 v23, 8, v9
	v_cndmask_b32_e64 v2, 0, 1, vcc_lo
	v_cmp_ne_u32_e32 vcc_lo, 0, v8
	v_lshrrev_b32_e32 v33, v10, v28
	v_lshrrev_b32_e32 v32, v26, v30
	v_bfe_u32 v27, v9, 20, 11
	v_add_nc_u32_e32 v21, 0xfffffc10, v21
	v_cndmask_b32_e64 v8, 0, 1, vcc_lo
	v_lshlrev_b32_e32 v10, v10, v33
	v_and_or_b32 v15, 0xffe, v24, v15
	v_sub_nc_u32_e32 v31, 0x3f1, v27
	v_lshl_or_b32 v24, v21, 12, v11
	v_and_or_b32 v8, 0xffe, v23, v8
	v_lshlrev_b32_e32 v23, v26, v32
	v_add_nc_u32_e32 v27, 0xfffffc10, v27
	v_med3_i32 v26, v31, 0, 13
	v_bfe_u32 v25, v16, 20, 11
	v_or_b32_e32 v31, 0x1000, v8
	v_cmp_ne_u32_e32 vcc_lo, v23, v30
	v_lshrrev_b32_e32 v12, 16, v12
	v_lshl_or_b32 v2, v2, 9, 0x7c00
	v_sub_nc_u32_e32 v20, 0x3f1, v25
	v_lshrrev_b32_e32 v3, 16, v3
	v_cndmask_b32_e64 v23, 0, 1, vcc_lo
	v_cmp_ne_u32_e32 vcc_lo, v10, v28
	v_lshrrev_b32_e32 v28, v26, v31
	v_lshrrev_b32_e32 v16, 16, v16
	s_mul_i32 s3, s8, 0x438
	v_or_b32_e32 v23, v32, v23
	v_cndmask_b32_e64 v10, 0, 1, vcc_lo
	v_cmp_ne_u32_e32 vcc_lo, 0, v11
	v_or_b32_e32 v10, v33, v10
	v_cndmask_b32_e64 v11, 0, 1, vcc_lo
	v_cmp_gt_i32_e32 vcc_lo, 1, v21
	v_lshl_or_b32 v11, v11, 9, 0x7c00
	v_cndmask_b32_e32 v23, v24, v23, vcc_lo
	v_cmp_gt_i32_e32 vcc_lo, 1, v19
	v_lshlrev_b32_e32 v24, v26, v28
	v_and_b32_e32 v26, 7, v23
	v_cndmask_b32_e32 v10, v29, v10, vcc_lo
	v_cmp_ne_u32_e32 vcc_lo, v24, v31
	v_lshrrev_b32_e32 v23, 2, v23
	v_lshl_or_b32 v29, v27, 12, v8
	v_cmp_eq_u32_e64 s0, 3, v26
	v_and_b32_e32 v30, 7, v10
	v_cndmask_b32_e64 v24, 0, 1, vcc_lo
	v_cmp_lt_i32_e32 vcc_lo, 5, v26
	v_lshrrev_b32_e32 v10, 2, v10
	v_cmp_lt_i32_e64 s1, 5, v30
	v_cmp_eq_u32_e64 s2, 3, v30
	s_or_b32 vcc_lo, s0, vcc_lo
	v_or_b32_e32 v24, v28, v24
	v_add_co_ci_u32_e32 v23, vcc_lo, 0, v23, vcc_lo
	s_or_b32 vcc_lo, s2, s1
	v_cmp_eq_u32_e64 s1, 0x40f, v27
	v_add_co_ci_u32_e32 v10, vcc_lo, 0, v10, vcc_lo
	v_cmp_gt_i32_e32 vcc_lo, 31, v21
	s_mul_hi_u32 s2, s8, 0x438
	v_cndmask_b32_e32 v23, 0x7c00, v23, vcc_lo
	v_cmp_gt_i32_e32 vcc_lo, 31, v19
	v_cndmask_b32_e32 v10, 0x7c00, v10, vcc_lo
	v_cmp_eq_u32_e32 vcc_lo, 0x40f, v21
	v_cndmask_b32_e32 v11, v23, v11, vcc_lo
	v_cmp_gt_i32_e32 vcc_lo, 1, v27
	v_cndmask_b32_e32 v21, v29, v24, vcc_lo
	v_cmp_eq_u32_e32 vcc_lo, 0x40f, v19
	v_or_b32_e32 v19, 0x1000, v15
	v_cndmask_b32_e32 v2, v10, v2, vcc_lo
	v_and_or_b32 v10, 0x8000, v12, v11
	v_med3_i32 v12, v20, 0, 13
	v_and_b32_e32 v20, 7, v21
	v_and_or_b32 v2, 0x8000, v3, v2
	v_and_b32_e32 v3, 0xffff, v10
	v_add_co_u32 v10, vcc_lo, v6, v13
	v_lshrrev_b32_e32 v6, v12, v19
	v_add_co_ci_u32_e32 v11, vcc_lo, v22, v14, vcc_lo
	v_cmp_lt_i32_e32 vcc_lo, 5, v20
	v_cmp_eq_u32_e64 s0, 3, v20
	v_lshl_or_b32 v2, v2, 16, v3
	v_lshrrev_b32_e32 v3, 2, v21
	v_lshlrev_b32_e32 v12, v12, v6
	s_or_b32 vcc_lo, s0, vcc_lo
	global_store_dword v[10:11], v2, off
	v_add_co_ci_u32_e32 v3, vcc_lo, 0, v3, vcc_lo
	v_cmp_ne_u32_e32 vcc_lo, v12, v19
	v_add_nc_u32_e32 v19, 0xfffffc10, v25
	v_cvt_f64_f32_e32 v[12:13], v0
	v_cndmask_b32_e64 v14, 0, 1, vcc_lo
	v_cmp_gt_i32_e32 vcc_lo, 31, v27
	v_or_b32_e32 v2, v6, v14
	v_cndmask_b32_e32 v0, 0x7c00, v3, vcc_lo
	v_cmp_ne_u32_e32 vcc_lo, 0, v8
	v_lshl_or_b32 v3, v19, 12, v15
	v_and_or_b32 v6, 0x1ff, v18, v17
	v_add_nc_u32_e32 v17, 0xc00, v49
	v_cndmask_b32_e64 v8, 0, 1, vcc_lo
	v_cmp_gt_i32_e32 vcc_lo, 1, v19
	v_lshl_or_b32 v8, v8, 9, 0x7c00
	v_cndmask_b32_e32 v14, v3, v2, vcc_lo
	v_cmp_ne_u32_e32 vcc_lo, 0, v6
	v_lshrrev_b32_e32 v3, 8, v18
	v_bfe_u32 v6, v18, 20, 11
	v_mul_f64 v[12:13], v[12:13], s[4:5]
	v_and_b32_e32 v20, 7, v14
	v_cndmask_b32_e64 v2, 0, 1, vcc_lo
	v_lshrrev_b32_e32 v14, 2, v14
	v_sub_nc_u32_e32 v22, 0x3f1, v6
	v_cndmask_b32_e64 v0, v0, v8, s1
	v_cmp_lt_i32_e32 vcc_lo, 5, v20
	v_and_or_b32 v21, 0xffe, v3, v2
	ds_read2_b32 v[2:3], v17 offset0:42 offset1:177
	v_cmp_eq_u32_e64 s0, 3, v20
	v_med3_i32 v22, v22, 0, 13
	v_lshrrev_b32_e32 v20, 16, v9
	v_or_b32_e32 v17, 0x1000, v21
	v_add_nc_u32_e32 v6, 0xfffffc10, v6
	s_or_b32 vcc_lo, s0, vcc_lo
	v_add_co_ci_u32_e32 v14, vcc_lo, 0, v14, vcc_lo
	v_lshrrev_b32_e32 v8, v22, v17
	v_cmp_ne_u32_e32 vcc_lo, 0, v15
	v_and_or_b32 v0, 0x8000, v20, v0
	v_and_or_b32 v12, 0x1ff, v13, v12
	v_lshlrev_b32_e32 v9, v22, v8
	v_cndmask_b32_e64 v15, 0, 1, vcc_lo
	v_cmp_gt_i32_e32 vcc_lo, 31, v19
	v_and_b32_e32 v0, 0xffff, v0
	s_waitcnt lgkmcnt(0)
	v_lshrrev_b32_e32 v22, 16, v2
	v_lshl_or_b32 v15, v15, 9, 0x7c00
	v_cndmask_b32_e32 v14, 0x7c00, v14, vcc_lo
	v_cmp_ne_u32_e32 vcc_lo, v9, v17
	v_mul_f16_sdwa v17, v50, v22 dst_sel:DWORD dst_unused:UNUSED_PAD src0_sel:WORD_1 src1_sel:DWORD
	v_cndmask_b32_e64 v9, 0, 1, vcc_lo
	v_cmp_eq_u32_e32 vcc_lo, 0x40f, v19
	v_fmac_f16_e32 v17, v50, v2
	v_bfe_u32 v19, v13, 20, 11
	v_mul_f16_sdwa v2, v50, v2 dst_sel:DWORD dst_unused:UNUSED_PAD src0_sel:WORD_1 src1_sel:DWORD
	v_or_b32_e32 v8, v8, v9
	v_cndmask_b32_e32 v14, v14, v15, vcc_lo
	v_cmp_ne_u32_e32 vcc_lo, 0, v12
	v_lshl_or_b32 v9, v6, 12, v21
	v_cvt_f32_f16_e32 v17, v17
	v_lshrrev_b32_e32 v15, 8, v13
	v_and_or_b32 v14, 0x8000, v16, v14
	v_cndmask_b32_e64 v12, 0, 1, vcc_lo
	v_cmp_gt_i32_e32 vcc_lo, 1, v6
	v_fma_f16 v2, v50, v22, -v2
	v_lshrrev_b32_e32 v13, 16, v13
	v_lshl_or_b32 v0, v14, 16, v0
	v_and_or_b32 v12, 0xffe, v15, v12
	v_cndmask_b32_e32 v23, v9, v8, vcc_lo
	v_cvt_f64_f32_e32 v[8:9], v17
	v_sub_nc_u32_e32 v15, 0x3f1, v19
	v_cvt_f32_f16_e32 v2, v2
	v_or_b32_e32 v20, 0x1000, v12
	v_and_b32_e32 v17, 7, v23
	v_lshrrev_b32_e32 v14, 2, v23
	v_med3_i32 v15, v15, 0, 13
	v_add_nc_u32_e32 v19, 0xfffffc10, v19
	v_cmp_lt_i32_e32 vcc_lo, 5, v17
	v_cmp_eq_u32_e64 s0, 3, v17
	v_lshrrev_b32_e32 v16, v15, v20
	s_or_b32 vcc_lo, s0, vcc_lo
	v_lshlrev_b32_e32 v15, v15, v16
	v_add_co_ci_u32_e32 v17, vcc_lo, 0, v14, vcc_lo
	s_mul_i32 s0, s9, 0x438
	v_cmp_ne_u32_e32 vcc_lo, v15, v20
	v_mul_f64 v[8:9], v[8:9], s[4:5]
	v_cvt_f64_f32_e32 v[14:15], v2
	s_add_i32 s2, s2, s0
	v_cndmask_b32_e64 v20, 0, 1, vcc_lo
	v_cmp_ne_u32_e32 vcc_lo, 0, v21
	v_or_b32_e32 v16, v16, v20
	v_cndmask_b32_e64 v2, 0, 1, vcc_lo
	v_cmp_gt_i32_e32 vcc_lo, 31, v6
	v_lshl_or_b32 v20, v19, 12, v12
	v_lshl_or_b32 v2, v2, 9, 0x7c00
	v_cndmask_b32_e32 v17, 0x7c00, v17, vcc_lo
	v_cmp_gt_i32_e32 vcc_lo, 1, v19
	v_cndmask_b32_e32 v16, v20, v16, vcc_lo
	v_cmp_eq_u32_e32 vcc_lo, 0x40f, v6
	ds_read2_b32 v[5:6], v5 offset0:56 offset1:191
	v_and_or_b32 v8, 0x1ff, v9, v8
	v_mul_f64 v[14:15], v[14:15], s[4:5]
	v_cndmask_b32_e32 v2, v17, v2, vcc_lo
	v_lshrrev_b32_e32 v17, 16, v18
	v_and_b32_e32 v18, 7, v16
	v_cmp_ne_u32_e64 s1, 0, v8
	v_lshrrev_b32_e32 v16, 2, v16
	v_and_or_b32 v2, 0x8000, v17, v2
	v_cmp_lt_i32_e32 vcc_lo, 5, v18
	v_cmp_eq_u32_e64 s0, 3, v18
	v_cndmask_b32_e64 v8, 0, 1, s1
	v_lshrrev_b32_e32 v17, 8, v9
	v_bfe_u32 v18, v9, 20, 11
	v_and_b32_e32 v2, 0xffff, v2
	s_or_b32 vcc_lo, s0, vcc_lo
	v_add_co_ci_u32_e32 v16, vcc_lo, 0, v16, vcc_lo
	v_and_or_b32 v8, 0xffe, v17, v8
	v_sub_nc_u32_e32 v17, 0x3f1, v18
	v_cmp_ne_u32_e32 vcc_lo, 0, v12
	s_waitcnt lgkmcnt(0)
	v_lshrrev_b32_e32 v20, 16, v5
	v_and_or_b32 v14, 0x1ff, v15, v14
	v_or_b32_e32 v21, 0x1000, v8
	v_med3_i32 v17, v17, 0, 13
	v_cndmask_b32_e64 v12, 0, 1, vcc_lo
	v_cmp_gt_i32_e32 vcc_lo, 31, v19
	v_mul_f16_sdwa v22, v48, v20 dst_sel:DWORD dst_unused:UNUSED_PAD src0_sel:WORD_1 src1_sel:DWORD
	v_bfe_u32 v24, v15, 20, 11
	v_lshrrev_b32_e32 v23, v17, v21
	v_lshl_or_b32 v12, v12, 9, 0x7c00
	v_cndmask_b32_e32 v16, 0x7c00, v16, vcc_lo
	v_cmp_eq_u32_e32 vcc_lo, 0x40f, v19
	v_fmac_f16_e32 v22, v48, v5
	v_lshlrev_b32_e32 v19, v17, v23
	v_mul_f16_sdwa v5, v48, v5 dst_sel:DWORD dst_unused:UNUSED_PAD src0_sel:WORD_1 src1_sel:DWORD
	v_cndmask_b32_e32 v12, v16, v12, vcc_lo
	v_cmp_ne_u32_e32 vcc_lo, 0, v14
	v_cvt_f32_f16_e32 v16, v22
	v_lshrrev_b32_e32 v22, 8, v15
	v_fma_f16 v5, v48, v20, -v5
	v_and_or_b32 v12, 0x8000, v13, v12
	v_cndmask_b32_e64 v14, 0, 1, vcc_lo
	v_cmp_ne_u32_e32 vcc_lo, v19, v21
	v_cvt_f64_f32_e32 v[16:17], v16
	v_add_nc_u32_e32 v21, 0xfffffc10, v18
	v_sub_nc_u32_e32 v18, 0x3f1, v24
	v_and_or_b32 v14, 0xffe, v22, v14
	v_cndmask_b32_e64 v19, 0, 1, vcc_lo
	v_lshl_or_b32 v2, v12, 16, v2
	v_lshl_or_b32 v22, v21, 12, v8
	v_med3_i32 v18, v18, 0, 13
	v_cmp_gt_i32_e32 vcc_lo, 1, v21
	v_or_b32_e32 v19, v23, v19
	v_or_b32_e32 v23, 0x1000, v14
	v_cvt_f32_f16_e32 v5, v5
	v_add_nc_u32_e32 v20, 0xfffffc10, v24
	v_cndmask_b32_e32 v19, v22, v19, vcc_lo
	v_lshrrev_b32_e32 v22, v18, v23
	v_add_co_u32 v10, vcc_lo, v10, s3
	v_add_co_ci_u32_e32 v11, vcc_lo, s2, v11, vcc_lo
	v_lshlrev_b32_e32 v18, v18, v22
	v_and_b32_e32 v25, 7, v19
	v_mul_f64 v[12:13], v[16:17], s[4:5]
	v_add_co_u32 v16, vcc_lo, v10, s3
	v_cmp_ne_u32_e64 s0, v18, v23
	v_add_co_ci_u32_e32 v17, vcc_lo, s2, v11, vcc_lo
	v_cmp_lt_i32_e32 vcc_lo, 5, v25
	v_lshrrev_b32_e32 v23, 2, v19
	v_cndmask_b32_e64 v18, 0, 1, s0
	v_cmp_eq_u32_e64 s0, 3, v25
	v_lshl_or_b32 v24, v20, 12, v14
	global_store_dword v[10:11], v0, off
	global_store_dword v[16:17], v2, off
	v_or_b32_e32 v22, v22, v18
	s_or_b32 vcc_lo, s0, vcc_lo
	v_cvt_f64_f32_e32 v[18:19], v5
	v_add_co_ci_u32_e32 v5, vcc_lo, 0, v23, vcc_lo
	v_cmp_ne_u32_e32 vcc_lo, 0, v8
	v_and_or_b32 v12, 0x1ff, v13, v12
	v_cndmask_b32_e64 v8, 0, 1, vcc_lo
	v_cmp_gt_i32_e32 vcc_lo, 1, v20
	v_bfe_u32 v25, v13, 20, 11
	v_lshl_or_b32 v8, v8, 9, 0x7c00
	v_cndmask_b32_e32 v22, v24, v22, vcc_lo
	v_cmp_gt_i32_e32 vcc_lo, 31, v21
	v_lshrrev_b32_e32 v24, 8, v13
	v_and_b32_e32 v23, 7, v22
	v_cndmask_b32_e32 v5, 0x7c00, v5, vcc_lo
	v_cmp_ne_u32_e32 vcc_lo, 0, v12
	v_cmp_eq_u32_e64 s0, 3, v23
	v_cndmask_b32_e64 v12, 0, 1, vcc_lo
	v_cmp_eq_u32_e32 vcc_lo, 0x40f, v21
	v_lshrrev_b32_e32 v21, 16, v9
	v_and_or_b32 v12, 0xffe, v24, v12
	v_cndmask_b32_e32 v5, v5, v8, vcc_lo
	v_cmp_lt_i32_e32 vcc_lo, 5, v23
	v_mul_f64 v[8:9], v[18:19], s[4:5]
	v_lshrrev_b32_e32 v19, 2, v22
	v_sub_nc_u32_e32 v24, 0x3f1, v25
	v_or_b32_e32 v22, 0x1000, v12
	s_or_b32 vcc_lo, s0, vcc_lo
	v_lshrrev_b32_e32 v18, 16, v4
	v_add_co_ci_u32_e32 v19, vcc_lo, 0, v19, vcc_lo
	v_med3_i32 v23, v24, 0, 13
	v_cmp_ne_u32_e32 vcc_lo, 0, v14
	v_mul_f16_sdwa v24, v47, v18 dst_sel:DWORD dst_unused:UNUSED_PAD src0_sel:WORD_1 src1_sel:DWORD
	v_and_or_b32 v5, 0x8000, v21, v5
	v_lshrrev_b32_e32 v26, v23, v22
	v_cndmask_b32_e64 v14, 0, 1, vcc_lo
	v_cmp_gt_i32_e32 vcc_lo, 31, v20
	v_fmac_f16_e32 v24, v47, v4
	v_and_b32_e32 v5, 0xffff, v5
	v_lshlrev_b32_e32 v21, v23, v26
	v_lshl_or_b32 v14, v14, 9, 0x7c00
	v_cndmask_b32_e32 v19, 0x7c00, v19, vcc_lo
	v_cmp_eq_u32_e32 vcc_lo, 0x40f, v20
	v_and_or_b32 v8, 0x1ff, v9, v8
	v_cvt_f32_f16_e32 v23, v24
	v_lshrrev_b32_e32 v20, 16, v15
	v_bfe_u32 v24, v9, 20, 11
	v_cndmask_b32_e32 v19, v19, v14, vcc_lo
	v_cmp_ne_u32_e32 vcc_lo, v21, v22
	v_cvt_f64_f32_e32 v[14:15], v23
	v_add_nc_u32_e32 v22, 0xfffffc10, v25
	v_lshrrev_b32_e32 v23, 8, v9
	v_and_or_b32 v19, 0x8000, v20, v19
	v_cndmask_b32_e64 v21, 0, 1, vcc_lo
	v_cmp_ne_u32_e32 vcc_lo, 0, v8
	v_mul_f16_sdwa v4, v47, v4 dst_sel:DWORD dst_unused:UNUSED_PAD src0_sel:WORD_1 src1_sel:DWORD
	v_lshrrev_b32_e32 v9, 16, v9
	v_lshl_or_b32 v0, v19, 16, v5
	v_or_b32_e32 v20, v26, v21
	v_cndmask_b32_e64 v8, 0, 1, vcc_lo
	v_lshl_or_b32 v21, v22, 12, v12
	v_cmp_gt_i32_e32 vcc_lo, 1, v22
	v_fma_f16 v4, v47, v18, -v4
	v_and_or_b32 v8, 0xffe, v23, v8
	v_sub_nc_u32_e32 v23, 0x3f1, v24
	v_cndmask_b32_e32 v20, v21, v20, vcc_lo
	v_cvt_f32_f16_e32 v4, v4
	v_or_b32_e32 v21, 0x1000, v8
	v_med3_i32 v23, v23, 0, 13
	v_and_b32_e32 v2, 7, v20
	v_mul_f64 v[10:11], v[14:15], s[4:5]
	v_add_co_u32 v14, vcc_lo, v16, s3
	v_lshrrev_b32_e32 v5, v23, v21
	v_add_co_ci_u32_e32 v15, vcc_lo, s2, v17, vcc_lo
	v_cmp_lt_i32_e32 vcc_lo, 5, v2
	v_cmp_eq_u32_e64 s0, 3, v2
	v_lshlrev_b32_e32 v16, v23, v5
	v_lshrrev_b32_e32 v2, 2, v20
	v_add_nc_u32_e32 v17, 0xfffffc10, v24
	global_store_dword v[14:15], v0, off
	s_or_b32 vcc_lo, s0, vcc_lo
	v_cmp_ne_u32_e64 s1, v16, v21
	v_add_co_ci_u32_e32 v2, vcc_lo, 0, v2, vcc_lo
	v_cmp_ne_u32_e32 vcc_lo, 0, v12
	v_lshl_or_b32 v18, v17, 12, v8
	v_cndmask_b32_e64 v16, 0, 1, s1
	v_cndmask_b32_e64 v12, 0, 1, vcc_lo
	v_cmp_gt_i32_e32 vcc_lo, 1, v17
	v_or_b32_e32 v16, v5, v16
	v_cvt_f64_f32_e32 v[4:5], v4
	v_and_or_b32 v10, 0x1ff, v11, v10
	v_lshl_or_b32 v12, v12, 9, 0x7c00
	v_lshrrev_b32_e32 v19, 8, v11
	v_cndmask_b32_e32 v16, v18, v16, vcc_lo
	v_cmp_gt_i32_e32 vcc_lo, 31, v22
	v_bfe_u32 v20, v11, 20, 11
	v_lshrrev_b32_e32 v11, 16, v11
	v_and_b32_e32 v18, 7, v16
	v_cndmask_b32_e32 v2, 0x7c00, v2, vcc_lo
	v_cmp_ne_u32_e32 vcc_lo, 0, v10
	v_lshrrev_b32_e32 v16, 2, v16
	v_cmp_eq_u32_e64 s0, 3, v18
	v_cndmask_b32_e64 v10, 0, 1, vcc_lo
	v_cmp_eq_u32_e32 vcc_lo, 0x40f, v22
	v_and_or_b32 v10, 0xffe, v19, v10
	v_cndmask_b32_e32 v2, v2, v12, vcc_lo
	v_cmp_lt_i32_e32 vcc_lo, 5, v18
	v_mul_f64 v[4:5], v[4:5], s[4:5]
	v_lshrrev_b32_e32 v12, 16, v13
	v_sub_nc_u32_e32 v13, 0x3f1, v20
	v_or_b32_e32 v18, 0x1000, v10
	s_or_b32 vcc_lo, s0, vcc_lo
	v_lshrrev_b32_e32 v19, 16, v7
	v_add_co_ci_u32_e32 v16, vcc_lo, 0, v16, vcc_lo
	v_med3_i32 v13, v13, 0, 13
	v_cmp_ne_u32_e32 vcc_lo, 0, v8
	v_mul_f16_sdwa v22, v46, v19 dst_sel:DWORD dst_unused:UNUSED_PAD src0_sel:WORD_1 src1_sel:DWORD
	v_and_or_b32 v2, 0x8000, v12, v2
	v_lshrrev_b32_e32 v21, v13, v18
	v_cndmask_b32_e64 v8, 0, 1, vcc_lo
	v_cmp_gt_i32_e32 vcc_lo, 31, v17
	v_fmac_f16_e32 v22, v46, v7
	v_and_b32_e32 v2, 0xffff, v2
	v_lshlrev_b32_e32 v12, v13, v21
	v_lshl_or_b32 v8, v8, 9, 0x7c00
	v_cndmask_b32_e32 v16, 0x7c00, v16, vcc_lo
	v_cmp_eq_u32_e32 vcc_lo, 0x40f, v17
	v_and_or_b32 v4, 0x1ff, v5, v4
	v_cvt_f32_f16_e32 v13, v22
	v_mul_f16_sdwa v7, v46, v7 dst_sel:DWORD dst_unused:UNUSED_PAD src0_sel:WORD_1 src1_sel:DWORD
	v_cndmask_b32_e32 v8, v16, v8, vcc_lo
	v_cmp_ne_u32_e32 vcc_lo, v12, v18
	v_add_nc_u32_e32 v16, 0xfffffc10, v20
	v_bfe_u32 v20, v5, 20, 11
	v_fma_f16 v7, v46, v19, -v7
	v_and_or_b32 v17, 0x8000, v9, v8
	v_cndmask_b32_e64 v12, 0, 1, vcc_lo
	v_cmp_ne_u32_e32 vcc_lo, 0, v4
	v_lshl_or_b32 v18, v16, 12, v10
	v_cvt_f64_f32_e32 v[8:9], v13
	v_lshrrev_b32_e32 v13, 8, v5
	v_or_b32_e32 v12, v21, v12
	v_cndmask_b32_e64 v4, 0, 1, vcc_lo
	v_cmp_gt_i32_e32 vcc_lo, 1, v16
	v_lshl_or_b32 v0, v17, 16, v2
	v_cvt_f32_f16_e32 v7, v7
	v_lshrrev_b32_e32 v5, 16, v5
	v_and_or_b32 v4, 0xffe, v13, v4
	v_cndmask_b32_e32 v18, v18, v12, vcc_lo
	v_sub_nc_u32_e32 v12, 0x3f1, v20
	v_or_b32_e32 v17, 0x1000, v4
	v_and_b32_e32 v2, 7, v18
	v_med3_i32 v21, v12, 0, 13
	v_add_co_u32 v12, vcc_lo, v14, s3
	v_add_co_ci_u32_e32 v13, vcc_lo, s2, v15, vcc_lo
	v_lshrrev_b32_e32 v14, v21, v17
	v_cmp_lt_i32_e32 vcc_lo, 5, v2
	v_cmp_eq_u32_e64 s0, 3, v2
	v_lshrrev_b32_e32 v2, 2, v18
	v_mul_f64 v[8:9], v[8:9], s[4:5]
	v_lshlrev_b32_e32 v15, v21, v14
	global_store_dword v[12:13], v0, off
	s_or_b32 vcc_lo, s0, vcc_lo
	v_add_co_ci_u32_e32 v2, vcc_lo, 0, v2, vcc_lo
	v_cmp_ne_u32_e32 vcc_lo, v15, v17
	v_add_nc_u32_e32 v17, 0xfffffc10, v20
	v_cndmask_b32_e64 v15, 0, 1, vcc_lo
	v_cmp_ne_u32_e32 vcc_lo, 0, v10
	v_lshl_or_b32 v19, v17, 12, v4
	v_or_b32_e32 v18, v14, v15
	v_cndmask_b32_e64 v10, 0, 1, vcc_lo
	v_cmp_gt_i32_e32 vcc_lo, 31, v16
	v_cvt_f64_f32_e32 v[14:15], v7
	v_and_or_b32 v8, 0x1ff, v9, v8
	v_lshl_or_b32 v7, v10, 9, 0x7c00
	v_cndmask_b32_e32 v2, 0x7c00, v2, vcc_lo
	v_cmp_gt_i32_e32 vcc_lo, 1, v17
	v_cndmask_b32_e32 v10, v19, v18, vcc_lo
	v_cmp_eq_u32_e32 vcc_lo, 0x40f, v16
	v_bfe_u32 v16, v9, 20, 11
	v_lshrrev_b32_e32 v18, 16, v1
	v_cndmask_b32_e32 v0, v2, v7, vcc_lo
	v_cmp_ne_u32_e32 vcc_lo, 0, v8
	v_and_b32_e32 v2, 7, v10
	v_lshrrev_b32_e32 v8, 8, v9
	v_lshrrev_b32_e32 v10, 2, v10
	v_mul_f16_sdwa v20, v45, v18 dst_sel:DWORD dst_unused:UNUSED_PAD src0_sel:WORD_1 src1_sel:DWORD
	v_cndmask_b32_e64 v7, 0, 1, vcc_lo
	v_cmp_lt_i32_e32 vcc_lo, 5, v2
	v_cmp_eq_u32_e64 s0, 3, v2
	v_sub_nc_u32_e32 v2, 0x3f1, v16
	v_fmac_f16_e32 v20, v45, v1
	v_and_or_b32 v19, 0xffe, v8, v7
	v_mul_f64 v[7:8], v[14:15], s[4:5]
	s_or_b32 vcc_lo, s0, vcc_lo
	v_med3_i32 v2, v2, 0, 13
	v_add_co_ci_u32_e32 v10, vcc_lo, 0, v10, vcc_lo
	v_or_b32_e32 v21, 0x1000, v19
	v_cmp_ne_u32_e32 vcc_lo, 0, v4
	v_cvt_f32_f16_e32 v15, v20
	v_and_or_b32 v0, 0x8000, v11, v0
	v_mul_f16_sdwa v1, v45, v1 dst_sel:DWORD dst_unused:UNUSED_PAD src0_sel:WORD_1 src1_sel:DWORD
	v_lshrrev_b32_e32 v14, v2, v21
	v_cndmask_b32_e64 v4, 0, 1, vcc_lo
	v_cmp_gt_i32_e32 vcc_lo, 31, v17
	v_and_b32_e32 v0, 0xffff, v0
	s_mul_i32 s0, s9, 0xfffff13c
	v_lshlrev_b32_e32 v2, v2, v14
	v_lshl_or_b32 v4, v4, 9, 0x7c00
	v_cndmask_b32_e32 v20, 0x7c00, v10, vcc_lo
	v_cmp_eq_u32_e32 vcc_lo, 0x40f, v17
	v_cvt_f64_f32_e32 v[10:11], v15
	v_add_nc_u32_e32 v15, 0xfffffc10, v16
	s_sub_i32 s1, s0, s8
	v_and_or_b32 v7, 0x1ff, v8, v7
	v_cndmask_b32_e32 v4, v20, v4, vcc_lo
	v_cmp_ne_u32_e32 vcc_lo, v2, v21
	v_lshrrev_b32_e32 v17, 8, v8
	v_bfe_u32 v20, v8, 20, 11
	v_lshrrev_b32_e32 v9, 16, v9
	v_and_or_b32 v16, 0x8000, v5, v4
	v_cndmask_b32_e64 v2, 0, 1, vcc_lo
	v_cmp_ne_u32_e32 vcc_lo, 0, v7
	v_mad_u64_u32 v[4:5], null, 0xfffff13c, s8, v[12:13]
	v_sub_nc_u32_e32 v12, 0x3f1, v20
	v_or_b32_e32 v2, v14, v2
	v_cndmask_b32_e64 v7, 0, 1, vcc_lo
	v_lshl_or_b32 v14, v15, 12, v19
	v_cmp_gt_i32_e32 vcc_lo, 1, v15
	v_med3_i32 v12, v12, 0, 13
	v_lshl_or_b32 v16, v16, 16, v0
	v_and_or_b32 v7, 0xffe, v17, v7
	v_mul_f64 v[10:11], v[10:11], s[4:5]
	v_cndmask_b32_e32 v2, v14, v2, vcc_lo
	v_fma_f16 v0, v45, v18, -v1
	v_add_nc_u32_e32 v5, s1, v5
	v_or_b32_e32 v14, 0x1000, v7
	v_and_b32_e32 v13, 7, v2
	v_lshrrev_b32_e32 v1, 2, v2
	v_cvt_f32_f16_e32 v0, v0
	v_lshrrev_b32_e32 v17, v12, v14
	v_cmp_lt_i32_e32 vcc_lo, 5, v13
	v_cmp_eq_u32_e64 s0, 3, v13
	v_add_nc_u32_e32 v13, 0xfffffc10, v20
	v_lshlrev_b32_e32 v2, v12, v17
	s_or_b32 vcc_lo, s0, vcc_lo
	v_add_co_ci_u32_e32 v12, vcc_lo, 0, v1, vcc_lo
	v_cmp_ne_u32_e32 vcc_lo, v2, v14
	v_and_or_b32 v10, 0x1ff, v11, v10
	v_cvt_f64_f32_e32 v[0:1], v0
	v_lshl_or_b32 v14, v13, 12, v7
	v_bfe_u32 v18, v11, 20, 11
	v_cndmask_b32_e64 v2, 0, 1, vcc_lo
	v_cmp_gt_i32_e32 vcc_lo, 31, v15
	v_or_b32_e32 v2, v17, v2
	v_cndmask_b32_e32 v12, 0x7c00, v12, vcc_lo
	v_cmp_ne_u32_e32 vcc_lo, 0, v10
	v_lshrrev_b32_e32 v17, 8, v11
	v_lshrrev_b32_e32 v11, 16, v11
	v_cndmask_b32_e64 v10, 0, 1, vcc_lo
	v_cmp_ne_u32_e32 vcc_lo, 0, v19
	v_cndmask_b32_e64 v19, 0, 1, vcc_lo
	v_cmp_gt_i32_e32 vcc_lo, 1, v13
	v_mul_f64 v[0:1], v[0:1], s[4:5]
	v_cndmask_b32_e32 v2, v14, v2, vcc_lo
	v_and_or_b32 v14, 0xffe, v17, v10
	v_sub_nc_u32_e32 v10, 0x3f1, v18
	v_lshl_or_b32 v17, v19, 9, 0x7c00
	v_cmp_eq_u32_e32 vcc_lo, 0x40f, v15
	v_and_b32_e32 v20, 7, v2
	v_or_b32_e32 v21, 0x1000, v14
	v_med3_i32 v10, v10, 0, 13
	v_lshrrev_b32_e32 v19, 16, v3
	v_cndmask_b32_e32 v12, v12, v17, vcc_lo
	v_cmp_lt_i32_e32 vcc_lo, 5, v20
	v_cmp_eq_u32_e64 s0, 3, v20
	v_lshrrev_b32_e32 v15, v10, v21
	v_lshrrev_b32_e32 v2, 2, v2
	v_and_or_b32 v12, 0x8000, v9, v12
	v_mul_f16_sdwa v22, v44, v19 dst_sel:DWORD dst_unused:UNUSED_PAD src0_sel:WORD_1 src1_sel:DWORD
	s_or_b32 vcc_lo, s0, vcc_lo
	v_lshlrev_b32_e32 v9, v10, v15
	v_add_co_ci_u32_e32 v2, vcc_lo, 0, v2, vcc_lo
	v_fmac_f16_e32 v22, v44, v3
	v_add_nc_u32_e32 v18, 0xfffffc10, v18
	v_cmp_ne_u32_e32 vcc_lo, v9, v21
	v_and_or_b32 v0, 0x1ff, v1, v0
	v_bfe_u32 v20, v1, 20, 11
	v_cvt_f32_f16_e32 v10, v22
	v_and_b32_e32 v12, 0xffff, v12
	v_cndmask_b32_e64 v17, 0, 1, vcc_lo
	v_cmp_ne_u32_e32 vcc_lo, 0, v7
	v_mul_f16_sdwa v3, v44, v3 dst_sel:DWORD dst_unused:UNUSED_PAD src0_sel:WORD_1 src1_sel:DWORD
	v_cvt_f64_f32_e32 v[9:10], v10
	v_or_b32_e32 v15, v15, v17
	v_cndmask_b32_e64 v7, 0, 1, vcc_lo
	v_cmp_gt_i32_e32 vcc_lo, 31, v13
	v_lshl_or_b32 v17, v18, 12, v14
	v_fma_f16 v3, v44, v19, -v3
	v_lshrrev_b32_e32 v19, 16, v6
	v_lshl_or_b32 v7, v7, 9, 0x7c00
	v_cndmask_b32_e32 v2, 0x7c00, v2, vcc_lo
	v_cmp_gt_i32_e32 vcc_lo, 1, v18
	v_mul_f16_sdwa v22, v43, v19 dst_sel:DWORD dst_unused:UNUSED_PAD src0_sel:WORD_1 src1_sel:DWORD
	v_cndmask_b32_e32 v15, v17, v15, vcc_lo
	v_cmp_ne_u32_e32 vcc_lo, 0, v0
	v_lshrrev_b32_e32 v17, 8, v1
	v_fmac_f16_e32 v22, v43, v6
	v_mul_f16_sdwa v6, v43, v6 dst_sel:DWORD dst_unused:UNUSED_PAD src0_sel:WORD_1 src1_sel:DWORD
	v_and_b32_e32 v21, 7, v15
	v_cndmask_b32_e64 v0, 0, 1, vcc_lo
	v_cmp_eq_u32_e32 vcc_lo, 0x40f, v13
	v_sub_nc_u32_e32 v13, 0x3f1, v20
	v_fma_f16 v6, v43, v19, -v6
	v_cmp_eq_u32_e64 s0, 3, v21
	v_and_or_b32 v0, 0xffe, v17, v0
	v_cndmask_b32_e32 v2, v2, v7, vcc_lo
	v_cmp_lt_i32_e32 vcc_lo, 5, v21
	v_lshrrev_b32_e32 v17, 16, v8
	v_mul_f64 v[7:8], v[9:10], s[4:5]
	v_med3_i32 v10, v13, 0, 13
	v_lshrrev_b32_e32 v13, 2, v15
	v_or_b32_e32 v9, 0x1000, v0
	s_or_b32 vcc_lo, s0, vcc_lo
	v_and_or_b32 v2, 0x8000, v17, v2
	v_cvt_f32_f16_e32 v6, v6
	v_add_co_ci_u32_e32 v13, vcc_lo, 0, v13, vcc_lo
	v_lshrrev_b32_e32 v15, v10, v9
	v_cmp_ne_u32_e32 vcc_lo, 0, v14
	v_lshl_or_b32 v17, v2, 16, v12
	v_lshlrev_b32_e32 v2, v10, v15
	v_cndmask_b32_e64 v14, 0, 1, vcc_lo
	v_cmp_gt_i32_e32 vcc_lo, 31, v18
	v_lshl_or_b32 v12, v14, 9, 0x7c00
	v_cndmask_b32_e32 v10, 0x7c00, v13, vcc_lo
	v_cmp_ne_u32_e32 vcc_lo, v2, v9
	v_and_or_b32 v7, 0x1ff, v8, v7
	v_add_nc_u32_e32 v13, 0xfffffc10, v20
	v_lshrrev_b32_e32 v14, 8, v8
	v_cndmask_b32_e64 v2, 0, 1, vcc_lo
	v_cmp_eq_u32_e32 vcc_lo, 0x40f, v18
	v_or_b32_e32 v9, v15, v2
	v_cndmask_b32_e32 v12, v10, v12, vcc_lo
	v_cmp_ne_u32_e32 vcc_lo, 0, v7
	v_cvt_f32_f16_e32 v2, v3
	v_bfe_u32 v15, v8, 20, 11
	v_lshl_or_b32 v10, v13, 12, v0
	v_and_or_b32 v23, 0x8000, v11, v12
	v_cndmask_b32_e64 v7, 0, 1, vcc_lo
	v_cmp_gt_i32_e32 vcc_lo, 1, v13
	v_cvt_f64_f32_e32 v[2:3], v2
	v_cvt_f32_f16_e32 v12, v22
	v_lshrrev_b32_e32 v8, 16, v8
	v_and_or_b32 v14, 0xffe, v14, v7
	v_sub_nc_u32_e32 v7, 0x3f1, v15
	v_cndmask_b32_e32 v18, v10, v9, vcc_lo
	v_add_co_u32 v9, vcc_lo, v4, s3
	v_or_b32_e32 v21, 0x1000, v14
	v_med3_i32 v7, v7, 0, 13
	v_and_b32_e32 v20, 7, v18
	v_add_co_ci_u32_e32 v10, vcc_lo, s2, v5, vcc_lo
	v_lshrrev_b32_e32 v11, 2, v18
	v_lshrrev_b32_e32 v24, v7, v21
	v_cmp_lt_i32_e32 vcc_lo, 5, v20
	v_cmp_eq_u32_e64 s0, 3, v20
	v_add_nc_u32_e32 v15, 0xfffffc10, v15
	v_lshlrev_b32_e32 v7, v7, v24
	s_or_b32 vcc_lo, s0, vcc_lo
	v_mul_f64 v[2:3], v[2:3], s[4:5]
	v_add_co_ci_u32_e32 v18, vcc_lo, 0, v11, vcc_lo
	v_cmp_ne_u32_e32 vcc_lo, v7, v21
	v_cvt_f64_f32_e32 v[11:12], v12
	v_lshl_or_b32 v20, v15, 12, v14
	v_cndmask_b32_e64 v7, 0, 1, vcc_lo
	v_cmp_ne_u32_e32 vcc_lo, 0, v0
	v_or_b32_e32 v7, v24, v7
	v_cndmask_b32_e64 v0, 0, 1, vcc_lo
	v_cmp_gt_i32_e32 vcc_lo, 31, v13
	v_lshl_or_b32 v0, v0, 9, 0x7c00
	v_cndmask_b32_e32 v18, 0x7c00, v18, vcc_lo
	v_cmp_gt_i32_e32 vcc_lo, 1, v15
	v_and_or_b32 v2, 0x1ff, v3, v2
	v_cndmask_b32_e32 v19, v20, v7, vcc_lo
	v_cmp_eq_u32_e32 vcc_lo, 0x40f, v13
	v_and_b32_e32 v20, 7, v19
	v_cndmask_b32_e32 v13, v18, v0, vcc_lo
	v_lshrrev_b32_e32 v18, 16, v1
	v_cvt_f64_f32_e32 v[0:1], v6
	v_mul_f64 v[6:7], v[11:12], s[4:5]
	v_cmp_ne_u32_e32 vcc_lo, 0, v2
	v_lshrrev_b32_e32 v11, 8, v3
	v_and_or_b32 v13, 0x8000, v18, v13
	v_and_b32_e32 v18, 0xffff, v23
	v_bfe_u32 v12, v3, 20, 11
	v_cndmask_b32_e64 v2, 0, 1, vcc_lo
	v_cmp_lt_i32_e32 vcc_lo, 5, v20
	v_cmp_eq_u32_e64 s0, 3, v20
	v_lshl_or_b32 v13, v13, 16, v18
	v_lshrrev_b32_e32 v18, 2, v19
	v_and_or_b32 v2, 0xffe, v11, v2
	v_sub_nc_u32_e32 v11, 0x3f1, v12
	s_or_b32 vcc_lo, s0, vcc_lo
	v_add_nc_u32_e32 v12, 0xfffffc10, v12
	v_add_co_ci_u32_e32 v18, vcc_lo, 0, v18, vcc_lo
	v_or_b32_e32 v19, 0x1000, v2
	v_med3_i32 v11, v11, 0, 13
	v_cmp_ne_u32_e32 vcc_lo, 0, v14
	v_lshrrev_b32_e32 v3, 16, v3
	v_mul_f64 v[0:1], v[0:1], s[4:5]
	v_and_or_b32 v6, 0x1ff, v7, v6
	v_lshrrev_b32_e32 v20, v11, v19
	v_cndmask_b32_e64 v14, 0, 1, vcc_lo
	v_cmp_gt_i32_e32 vcc_lo, 31, v15
	v_lshrrev_b32_e32 v21, 8, v7
	v_bfe_u32 v22, v7, 20, 11
	v_lshlrev_b32_e32 v11, v11, v20
	v_lshl_or_b32 v14, v14, 9, 0x7c00
	v_cndmask_b32_e32 v18, 0x7c00, v18, vcc_lo
	v_cmp_ne_u32_e32 vcc_lo, 0, v6
	v_lshrrev_b32_e32 v7, 16, v7
	v_cndmask_b32_e64 v6, 0, 1, vcc_lo
	v_cmp_ne_u32_e32 vcc_lo, v11, v19
	v_sub_nc_u32_e32 v19, 0x3f1, v22
	v_and_or_b32 v6, 0xffe, v21, v6
	v_cndmask_b32_e64 v11, 0, 1, vcc_lo
	v_cmp_eq_u32_e32 vcc_lo, 0x40f, v15
	v_lshl_or_b32 v15, v12, 12, v2
	v_med3_i32 v19, v19, 0, 13
	v_and_or_b32 v0, 0x1ff, v1, v0
	v_or_b32_e32 v11, v20, v11
	v_cndmask_b32_e32 v14, v18, v14, vcc_lo
	v_or_b32_e32 v18, 0x1000, v6
	v_cmp_gt_i32_e32 vcc_lo, 1, v12
	v_lshrrev_b32_e32 v20, 8, v1
	v_bfe_u32 v21, v1, 20, 11
	v_and_or_b32 v8, 0x8000, v8, v14
	v_cndmask_b32_e32 v11, v15, v11, vcc_lo
	v_lshrrev_b32_e32 v15, v19, v18
	v_cmp_ne_u32_e32 vcc_lo, 0, v0
	v_sub_nc_u32_e32 v14, 0x3f1, v21
	v_and_b32_e32 v23, 7, v11
	v_lshlrev_b32_e32 v19, v19, v15
	v_cndmask_b32_e64 v0, 0, 1, vcc_lo
	v_lshrrev_b32_e32 v11, 2, v11
	v_med3_i32 v14, v14, 0, 13
	v_cmp_lt_i32_e32 vcc_lo, 5, v23
	v_cmp_ne_u32_e64 s0, v19, v18
	v_and_or_b32 v0, 0xffe, v20, v0
	v_add_nc_u32_e32 v20, 0xfffffc10, v22
	v_cndmask_b32_e64 v18, 0, 1, s0
	v_cmp_eq_u32_e64 s0, 3, v23
	v_or_b32_e32 v19, 0x1000, v0
	v_lshl_or_b32 v22, v20, 12, v6
	v_or_b32_e32 v15, v15, v18
	s_or_b32 vcc_lo, s0, vcc_lo
	v_lshrrev_b32_e32 v18, v14, v19
	v_add_co_ci_u32_e32 v11, vcc_lo, 0, v11, vcc_lo
	v_cmp_gt_i32_e32 vcc_lo, 1, v20
	v_lshlrev_b32_e32 v14, v14, v18
	v_cndmask_b32_e32 v15, v22, v15, vcc_lo
	v_cmp_ne_u32_e32 vcc_lo, 0, v2
	v_cndmask_b32_e64 v2, 0, 1, vcc_lo
	v_cmp_ne_u32_e32 vcc_lo, v14, v19
	v_add_nc_u32_e32 v19, 0xfffffc10, v21
	v_and_b32_e32 v21, 7, v15
	v_lshl_or_b32 v2, v2, 9, 0x7c00
	v_cndmask_b32_e64 v14, 0, 1, vcc_lo
	v_cmp_gt_i32_e32 vcc_lo, 31, v12
	v_cmp_gt_i32_e64 s1, 1, v19
	v_cmp_eq_u32_e64 s0, 3, v21
	v_or_b32_e32 v14, v18, v14
	v_lshl_or_b32 v18, v19, 12, v0
	v_cndmask_b32_e32 v11, 0x7c00, v11, vcc_lo
	v_cmp_lt_i32_e32 vcc_lo, 5, v21
	v_cndmask_b32_e64 v14, v18, v14, s1
	v_cmp_eq_u32_e64 s1, 0x40f, v12
	s_or_b32 vcc_lo, s0, vcc_lo
	v_and_b32_e32 v12, 7, v14
	v_cndmask_b32_e64 v2, v11, v2, s1
	v_lshrrev_b32_e32 v11, 2, v15
	v_cmp_gt_i32_e64 s1, 31, v20
	v_cmp_eq_u32_e64 s0, 3, v12
	v_and_or_b32 v2, 0x8000, v3, v2
	v_add_co_ci_u32_e32 v11, vcc_lo, 0, v11, vcc_lo
	v_cmp_ne_u32_e32 vcc_lo, 0, v6
	v_and_b32_e32 v3, 0xffff, v8
	v_lshrrev_b32_e32 v8, 16, v1
	v_cndmask_b32_e64 v11, 0x7c00, v11, s1
	v_cndmask_b32_e64 v6, 0, 1, vcc_lo
	v_cmp_lt_i32_e32 vcc_lo, 5, v12
	v_lshrrev_b32_e32 v12, 2, v14
	v_lshl_or_b32 v6, v6, 9, 0x7c00
	s_or_b32 vcc_lo, s0, vcc_lo
	v_add_co_ci_u32_e32 v12, vcc_lo, 0, v12, vcc_lo
	v_cmp_ne_u32_e32 vcc_lo, 0, v0
	v_cndmask_b32_e64 v0, 0, 1, vcc_lo
	v_cmp_eq_u32_e32 vcc_lo, 0x40f, v20
	v_lshl_or_b32 v0, v0, 9, 0x7c00
	v_cndmask_b32_e32 v6, v11, v6, vcc_lo
	v_cmp_gt_i32_e32 vcc_lo, 31, v19
	v_and_or_b32 v6, 0x8000, v7, v6
	v_cndmask_b32_e32 v11, 0x7c00, v12, vcc_lo
	v_cmp_eq_u32_e32 vcc_lo, 0x40f, v19
	v_and_b32_e32 v6, 0xffff, v6
	v_cndmask_b32_e32 v7, v11, v0, vcc_lo
	v_add_co_u32 v0, vcc_lo, v9, s3
	v_add_co_ci_u32_e32 v1, vcc_lo, s2, v10, vcc_lo
	v_lshl_or_b32 v11, v2, 16, v3
	v_and_or_b32 v7, 0x8000, v8, v7
	v_add_co_u32 v2, vcc_lo, v0, s3
	v_add_co_ci_u32_e32 v3, vcc_lo, s2, v1, vcc_lo
	v_lshl_or_b32 v8, v7, 16, v6
	v_add_co_u32 v6, vcc_lo, v2, s3
	v_add_co_ci_u32_e32 v7, vcc_lo, s2, v3, vcc_lo
	global_store_dword v[4:5], v16, off
	global_store_dword v[9:10], v17, off
	;; [unrolled: 1-line block ×5, first 2 shown]
.LBB0_26:
	s_endpgm
	.section	.rodata,"a",@progbits
	.p2align	6, 0x0
	.amdhsa_kernel bluestein_single_fwd_len1350_dim1_half_op_CI_CI
		.amdhsa_group_segment_fixed_size 5400
		.amdhsa_private_segment_fixed_size 0
		.amdhsa_kernarg_size 104
		.amdhsa_user_sgpr_count 6
		.amdhsa_user_sgpr_private_segment_buffer 1
		.amdhsa_user_sgpr_dispatch_ptr 0
		.amdhsa_user_sgpr_queue_ptr 0
		.amdhsa_user_sgpr_kernarg_segment_ptr 1
		.amdhsa_user_sgpr_dispatch_id 0
		.amdhsa_user_sgpr_flat_scratch_init 0
		.amdhsa_user_sgpr_private_segment_size 0
		.amdhsa_wavefront_size32 1
		.amdhsa_uses_dynamic_stack 0
		.amdhsa_system_sgpr_private_segment_wavefront_offset 0
		.amdhsa_system_sgpr_workgroup_id_x 1
		.amdhsa_system_sgpr_workgroup_id_y 0
		.amdhsa_system_sgpr_workgroup_id_z 0
		.amdhsa_system_sgpr_workgroup_info 0
		.amdhsa_system_vgpr_workitem_id 0
		.amdhsa_next_free_vgpr 102
		.amdhsa_next_free_sgpr 20
		.amdhsa_reserve_vcc 1
		.amdhsa_reserve_flat_scratch 0
		.amdhsa_float_round_mode_32 0
		.amdhsa_float_round_mode_16_64 0
		.amdhsa_float_denorm_mode_32 3
		.amdhsa_float_denorm_mode_16_64 3
		.amdhsa_dx10_clamp 1
		.amdhsa_ieee_mode 1
		.amdhsa_fp16_overflow 0
		.amdhsa_workgroup_processor_mode 1
		.amdhsa_memory_ordered 1
		.amdhsa_forward_progress 0
		.amdhsa_shared_vgpr_count 0
		.amdhsa_exception_fp_ieee_invalid_op 0
		.amdhsa_exception_fp_denorm_src 0
		.amdhsa_exception_fp_ieee_div_zero 0
		.amdhsa_exception_fp_ieee_overflow 0
		.amdhsa_exception_fp_ieee_underflow 0
		.amdhsa_exception_fp_ieee_inexact 0
		.amdhsa_exception_int_div_zero 0
	.end_amdhsa_kernel
	.text
.Lfunc_end0:
	.size	bluestein_single_fwd_len1350_dim1_half_op_CI_CI, .Lfunc_end0-bluestein_single_fwd_len1350_dim1_half_op_CI_CI
                                        ; -- End function
	.section	.AMDGPU.csdata,"",@progbits
; Kernel info:
; codeLenInByte = 18260
; NumSgprs: 22
; NumVgprs: 102
; ScratchSize: 0
; MemoryBound: 0
; FloatMode: 240
; IeeeMode: 1
; LDSByteSize: 5400 bytes/workgroup (compile time only)
; SGPRBlocks: 2
; VGPRBlocks: 12
; NumSGPRsForWavesPerEU: 22
; NumVGPRsForWavesPerEU: 102
; Occupancy: 9
; WaveLimiterHint : 1
; COMPUTE_PGM_RSRC2:SCRATCH_EN: 0
; COMPUTE_PGM_RSRC2:USER_SGPR: 6
; COMPUTE_PGM_RSRC2:TRAP_HANDLER: 0
; COMPUTE_PGM_RSRC2:TGID_X_EN: 1
; COMPUTE_PGM_RSRC2:TGID_Y_EN: 0
; COMPUTE_PGM_RSRC2:TGID_Z_EN: 0
; COMPUTE_PGM_RSRC2:TIDIG_COMP_CNT: 0
	.text
	.p2alignl 6, 3214868480
	.fill 48, 4, 3214868480
	.type	__hip_cuid_b5792b9913928b24,@object ; @__hip_cuid_b5792b9913928b24
	.section	.bss,"aw",@nobits
	.globl	__hip_cuid_b5792b9913928b24
__hip_cuid_b5792b9913928b24:
	.byte	0                               ; 0x0
	.size	__hip_cuid_b5792b9913928b24, 1

	.ident	"AMD clang version 19.0.0git (https://github.com/RadeonOpenCompute/llvm-project roc-6.4.0 25133 c7fe45cf4b819c5991fe208aaa96edf142730f1d)"
	.section	".note.GNU-stack","",@progbits
	.addrsig
	.addrsig_sym __hip_cuid_b5792b9913928b24
	.amdgpu_metadata
---
amdhsa.kernels:
  - .args:
      - .actual_access:  read_only
        .address_space:  global
        .offset:         0
        .size:           8
        .value_kind:     global_buffer
      - .actual_access:  read_only
        .address_space:  global
        .offset:         8
        .size:           8
        .value_kind:     global_buffer
      - .actual_access:  read_only
        .address_space:  global
        .offset:         16
        .size:           8
        .value_kind:     global_buffer
      - .actual_access:  read_only
        .address_space:  global
        .offset:         24
        .size:           8
        .value_kind:     global_buffer
      - .actual_access:  read_only
        .address_space:  global
        .offset:         32
        .size:           8
        .value_kind:     global_buffer
      - .offset:         40
        .size:           8
        .value_kind:     by_value
      - .address_space:  global
        .offset:         48
        .size:           8
        .value_kind:     global_buffer
      - .address_space:  global
        .offset:         56
        .size:           8
        .value_kind:     global_buffer
      - .address_space:  global
        .offset:         64
        .size:           8
        .value_kind:     global_buffer
      - .address_space:  global
        .offset:         72
        .size:           8
        .value_kind:     global_buffer
      - .offset:         80
        .size:           4
        .value_kind:     by_value
      - .address_space:  global
        .offset:         88
        .size:           8
        .value_kind:     global_buffer
      - .address_space:  global
        .offset:         96
        .size:           8
        .value_kind:     global_buffer
    .group_segment_fixed_size: 5400
    .kernarg_segment_align: 8
    .kernarg_segment_size: 104
    .language:       OpenCL C
    .language_version:
      - 2
      - 0
    .max_flat_workgroup_size: 135
    .name:           bluestein_single_fwd_len1350_dim1_half_op_CI_CI
    .private_segment_fixed_size: 0
    .sgpr_count:     22
    .sgpr_spill_count: 0
    .symbol:         bluestein_single_fwd_len1350_dim1_half_op_CI_CI.kd
    .uniform_work_group_size: 1
    .uses_dynamic_stack: false
    .vgpr_count:     102
    .vgpr_spill_count: 0
    .wavefront_size: 32
    .workgroup_processor_mode: 1
amdhsa.target:   amdgcn-amd-amdhsa--gfx1030
amdhsa.version:
  - 1
  - 2
...

	.end_amdgpu_metadata
